;; amdgpu-corpus repo=pytorch/pytorch kind=compiled arch=gfx906 opt=O3
	.amdgcn_target "amdgcn-amd-amdhsa--gfx906"
	.amdhsa_code_object_version 6
	.section	.text._ZN2at6native12_GLOBAL__N_122cdist_kernel_cuda_implIdNS1_5distsIdE1pEEEvPT_PKS6_S9_S6_lllll,"axG",@progbits,_ZN2at6native12_GLOBAL__N_122cdist_kernel_cuda_implIdNS1_5distsIdE1pEEEvPT_PKS6_S9_S6_lllll,comdat
	.globl	_ZN2at6native12_GLOBAL__N_122cdist_kernel_cuda_implIdNS1_5distsIdE1pEEEvPT_PKS6_S9_S6_lllll ; -- Begin function _ZN2at6native12_GLOBAL__N_122cdist_kernel_cuda_implIdNS1_5distsIdE1pEEEvPT_PKS6_S9_S6_lllll
	.p2align	8
	.type	_ZN2at6native12_GLOBAL__N_122cdist_kernel_cuda_implIdNS1_5distsIdE1pEEEvPT_PKS6_S9_S6_lllll,@function
_ZN2at6native12_GLOBAL__N_122cdist_kernel_cuda_implIdNS1_5distsIdE1pEEEvPT_PKS6_S9_S6_lllll: ; @_ZN2at6native12_GLOBAL__N_122cdist_kernel_cuda_implIdNS1_5distsIdE1pEEEvPT_PKS6_S9_S6_lllll
; %bb.0:
	s_load_dwordx16 s[12:27], s[4:5], 0x0
	s_mov_b32 s7, 0
	s_mov_b32 s0, s7
	s_waitcnt lgkmcnt(0)
	s_mov_b32 s1, s25
	s_cmp_lg_u64 s[0:1], 0
	s_cbranch_scc0 .LBB0_19
; %bb.1:
	s_ashr_i32 s0, s25, 31
	s_add_u32 s2, s24, s0
	s_mov_b32 s1, s0
	s_addc_u32 s3, s25, s0
	s_xor_b64 s[8:9], s[2:3], s[0:1]
	v_cvt_f32_u32_e32 v1, s8
	v_cvt_f32_u32_e32 v2, s9
	s_sub_u32 s28, 0, s8
	s_subb_u32 s29, 0, s9
	v_madmk_f32 v1, v2, 0x4f800000, v1
	v_rcp_f32_e32 v1, v1
	v_mul_f32_e32 v1, 0x5f7ffffc, v1
	v_mul_f32_e32 v2, 0x2f800000, v1
	v_trunc_f32_e32 v2, v2
	v_madmk_f32 v1, v2, 0xcf800000, v1
	v_cvt_u32_f32_e32 v2, v2
	v_cvt_u32_f32_e32 v1, v1
	v_readfirstlane_b32 s30, v2
	v_readfirstlane_b32 s10, v1
	s_mul_i32 s11, s28, s30
	s_mul_hi_u32 s33, s28, s10
	s_mul_i32 s31, s29, s10
	s_add_i32 s11, s33, s11
	s_add_i32 s11, s11, s31
	s_mul_i32 s34, s28, s10
	s_mul_i32 s33, s10, s11
	s_mul_hi_u32 s35, s10, s34
	s_mul_hi_u32 s31, s10, s11
	s_add_u32 s33, s35, s33
	s_addc_u32 s31, 0, s31
	s_mul_hi_u32 s36, s30, s34
	s_mul_i32 s34, s30, s34
	s_add_u32 s33, s33, s34
	s_mul_hi_u32 s35, s30, s11
	s_addc_u32 s31, s31, s36
	s_addc_u32 s33, s35, 0
	s_mul_i32 s11, s30, s11
	s_add_u32 s11, s31, s11
	s_addc_u32 s31, 0, s33
	s_add_u32 s33, s10, s11
	s_cselect_b64 s[10:11], -1, 0
	s_cmp_lg_u64 s[10:11], 0
	s_addc_u32 s30, s30, s31
	s_mul_i32 s10, s28, s30
	s_mul_hi_u32 s11, s28, s33
	s_add_i32 s10, s11, s10
	s_mul_i32 s29, s29, s33
	s_add_i32 s10, s10, s29
	s_mul_i32 s28, s28, s33
	s_mul_hi_u32 s29, s30, s28
	s_mul_i32 s31, s30, s28
	s_mul_i32 s35, s33, s10
	s_mul_hi_u32 s28, s33, s28
	s_mul_hi_u32 s34, s33, s10
	s_add_u32 s28, s28, s35
	s_addc_u32 s34, 0, s34
	s_add_u32 s28, s28, s31
	s_mul_hi_u32 s11, s30, s10
	s_addc_u32 s28, s34, s29
	s_addc_u32 s11, s11, 0
	s_mul_i32 s10, s30, s10
	s_add_u32 s10, s28, s10
	s_addc_u32 s28, 0, s11
	s_add_u32 s29, s33, s10
	s_cselect_b64 s[10:11], -1, 0
	s_cmp_lg_u64 s[10:11], 0
	s_addc_u32 s28, s30, s28
	s_add_u32 s10, s6, 0
	s_addc_u32 s11, 0, 0
	s_xor_b64 s[10:11], s[10:11], 0
	s_mul_i32 s31, s10, s28
	s_mul_hi_u32 s33, s10, s29
	s_mul_hi_u32 s30, s10, s28
	s_add_u32 s31, s33, s31
	s_addc_u32 s30, 0, s30
	s_mul_hi_u32 s34, s11, s29
	s_mul_i32 s29, s11, s29
	s_add_u32 s29, s31, s29
	s_mul_hi_u32 s33, s11, s28
	s_addc_u32 s29, s30, s34
	s_addc_u32 s30, s33, 0
	s_mul_i32 s28, s11, s28
	s_add_u32 s33, s29, s28
	s_addc_u32 s34, 0, s30
	s_mul_i32 s28, s8, s34
	s_mul_hi_u32 s29, s8, s33
	s_add_i32 s28, s29, s28
	s_mul_i32 s29, s9, s33
	s_add_i32 s35, s28, s29
	s_sub_i32 s30, s11, s35
	s_mul_i32 s28, s8, s33
	s_sub_u32 s10, s10, s28
	s_cselect_b64 s[28:29], -1, 0
	s_cmp_lg_u64 s[28:29], 0
	s_subb_u32 s36, s30, s9
	s_sub_u32 s37, s10, s8
	s_cselect_b64 s[30:31], -1, 0
	s_cmp_lg_u64 s[30:31], 0
	s_subb_u32 s30, s36, 0
	s_cmp_ge_u32 s30, s9
	s_cselect_b32 s31, -1, 0
	s_cmp_ge_u32 s37, s8
	s_cselect_b32 s36, -1, 0
	s_cmp_eq_u32 s30, s9
	s_cselect_b32 s30, s36, s31
	s_add_u32 s31, s33, 1
	s_addc_u32 s36, s34, 0
	s_add_u32 s37, s33, 2
	s_addc_u32 s38, s34, 0
	s_cmp_lg_u32 s30, 0
	s_cselect_b32 s30, s37, s31
	s_cselect_b32 s31, s38, s36
	s_cmp_lg_u64 s[28:29], 0
	s_subb_u32 s11, s11, s35
	s_cmp_ge_u32 s11, s9
	s_cselect_b32 s28, -1, 0
	s_cmp_ge_u32 s10, s8
	s_cselect_b32 s8, -1, 0
	s_cmp_eq_u32 s11, s9
	s_cselect_b32 s8, s8, s28
	s_cmp_lg_u32 s8, 0
	s_cselect_b32 s9, s31, s34
	s_cselect_b32 s8, s30, s33
	s_xor_b64 s[0:1], 0, s[0:1]
	s_xor_b64 s[8:9], s[8:9], s[0:1]
	s_sub_u32 s0, s8, s0
	s_subb_u32 s1, s9, s1
	s_cbranch_execnz .LBB0_3
.LBB0_2:
	v_cvt_f32_u32_e32 v1, s24
	s_sub_i32 s0, 0, s24
	s_mov_b32 s1, 0
	v_rcp_iflag_f32_e32 v1, v1
	v_mul_f32_e32 v1, 0x4f7ffffe, v1
	v_cvt_u32_f32_e32 v1, v1
	v_readfirstlane_b32 s2, v1
	s_mul_i32 s0, s0, s2
	s_mul_hi_u32 s0, s2, s0
	s_add_i32 s2, s2, s0
	s_mul_hi_u32 s0, s6, s2
	s_mul_i32 s3, s0, s24
	s_sub_i32 s3, s6, s3
	s_add_i32 s2, s0, 1
	s_sub_i32 s8, s3, s24
	s_cmp_ge_u32 s3, s24
	s_cselect_b32 s0, s2, s0
	s_cselect_b32 s3, s8, s3
	s_add_i32 s2, s0, 1
	s_cmp_ge_u32 s3, s24
	s_cselect_b32 s0, s2, s0
.LBB0_3:
	s_mul_i32 s2, s0, s25
	s_mul_hi_u32 s3, s0, s24
	s_add_i32 s2, s3, s2
	s_mul_i32 s3, s1, s24
	s_add_i32 s3, s2, s3
	s_mul_i32 s2, s0, s24
	s_sub_u32 s2, s6, s2
	s_subb_u32 s3, 0, s3
	s_or_b64 s[8:9], s[2:3], s[20:21]
	s_mov_b32 s8, 0
	s_cmp_lg_u64 s[8:9], 0
	s_cbranch_scc0 .LBB0_20
; %bb.4:
	s_ashr_i32 s8, s21, 31
	s_add_u32 s10, s20, s8
	s_mov_b32 s9, s8
	s_addc_u32 s11, s21, s8
	s_xor_b64 s[24:25], s[10:11], s[8:9]
	v_cvt_f32_u32_e32 v1, s24
	v_cvt_f32_u32_e32 v2, s25
	s_sub_u32 s30, 0, s24
	s_subb_u32 s31, 0, s25
	v_madmk_f32 v1, v2, 0x4f800000, v1
	v_rcp_f32_e32 v1, v1
	v_mul_f32_e32 v1, 0x5f7ffffc, v1
	v_mul_f32_e32 v2, 0x2f800000, v1
	v_trunc_f32_e32 v2, v2
	v_madmk_f32 v1, v2, 0xcf800000, v1
	v_cvt_u32_f32_e32 v2, v2
	v_cvt_u32_f32_e32 v1, v1
	v_readfirstlane_b32 s33, v2
	v_readfirstlane_b32 s28, v1
	s_mul_i32 s29, s30, s33
	s_mul_hi_u32 s35, s30, s28
	s_mul_i32 s34, s31, s28
	s_add_i32 s29, s35, s29
	s_add_i32 s29, s29, s34
	s_mul_i32 s36, s30, s28
	s_mul_i32 s35, s28, s29
	s_mul_hi_u32 s37, s28, s36
	s_mul_hi_u32 s34, s28, s29
	s_add_u32 s35, s37, s35
	s_addc_u32 s34, 0, s34
	s_mul_hi_u32 s38, s33, s36
	s_mul_i32 s36, s33, s36
	s_add_u32 s35, s35, s36
	s_mul_hi_u32 s37, s33, s29
	s_addc_u32 s34, s34, s38
	s_addc_u32 s35, s37, 0
	s_mul_i32 s29, s33, s29
	s_add_u32 s29, s34, s29
	s_addc_u32 s34, 0, s35
	s_add_u32 s35, s28, s29
	s_cselect_b64 s[28:29], -1, 0
	s_cmp_lg_u64 s[28:29], 0
	s_addc_u32 s33, s33, s34
	s_mul_i32 s28, s30, s33
	s_mul_hi_u32 s29, s30, s35
	s_add_i32 s28, s29, s28
	s_mul_i32 s31, s31, s35
	s_add_i32 s28, s28, s31
	s_mul_i32 s30, s30, s35
	s_mul_hi_u32 s31, s33, s30
	s_mul_i32 s34, s33, s30
	s_mul_i32 s37, s35, s28
	s_mul_hi_u32 s30, s35, s30
	s_mul_hi_u32 s36, s35, s28
	s_add_u32 s30, s30, s37
	s_addc_u32 s36, 0, s36
	s_add_u32 s30, s30, s34
	s_mul_hi_u32 s29, s33, s28
	s_addc_u32 s30, s36, s31
	s_addc_u32 s29, s29, 0
	s_mul_i32 s28, s33, s28
	s_add_u32 s28, s30, s28
	s_addc_u32 s30, 0, s29
	s_add_u32 s34, s35, s28
	s_cselect_b64 s[28:29], -1, 0
	s_cmp_lg_u64 s[28:29], 0
	s_addc_u32 s33, s33, s30
	s_ashr_i32 s28, s3, 31
	s_add_u32 s30, s2, s28
	s_mov_b32 s29, s28
	s_addc_u32 s31, s3, s28
	s_xor_b64 s[30:31], s[30:31], s[28:29]
	s_mul_i32 s36, s30, s33
	s_mul_hi_u32 s37, s30, s34
	s_mul_hi_u32 s35, s30, s33
	s_add_u32 s36, s37, s36
	s_addc_u32 s35, 0, s35
	s_mul_hi_u32 s38, s31, s34
	s_mul_i32 s34, s31, s34
	s_add_u32 s34, s36, s34
	s_mul_hi_u32 s37, s31, s33
	s_addc_u32 s34, s35, s38
	s_addc_u32 s35, s37, 0
	s_mul_i32 s33, s31, s33
	s_add_u32 s33, s34, s33
	s_addc_u32 s38, 0, s35
	s_mul_i32 s34, s24, s38
	s_mul_hi_u32 s35, s24, s33
	s_add_i32 s34, s35, s34
	s_mul_i32 s35, s25, s33
	s_add_i32 s39, s34, s35
	s_sub_i32 s36, s31, s39
	s_mul_i32 s34, s24, s33
	s_sub_u32 s30, s30, s34
	s_cselect_b64 s[34:35], -1, 0
	s_cmp_lg_u64 s[34:35], 0
	s_subb_u32 s40, s36, s25
	s_sub_u32 s41, s30, s24
	s_cselect_b64 s[36:37], -1, 0
	s_cmp_lg_u64 s[36:37], 0
	s_subb_u32 s36, s40, 0
	s_cmp_ge_u32 s36, s25
	s_cselect_b32 s37, -1, 0
	s_cmp_ge_u32 s41, s24
	s_cselect_b32 s40, -1, 0
	s_cmp_eq_u32 s36, s25
	s_cselect_b32 s36, s40, s37
	s_add_u32 s37, s33, 1
	s_addc_u32 s40, s38, 0
	s_add_u32 s41, s33, 2
	s_addc_u32 s42, s38, 0
	s_cmp_lg_u32 s36, 0
	s_cselect_b32 s36, s41, s37
	s_cselect_b32 s37, s42, s40
	s_cmp_lg_u64 s[34:35], 0
	s_subb_u32 s31, s31, s39
	s_cmp_ge_u32 s31, s25
	s_cselect_b32 s34, -1, 0
	s_cmp_ge_u32 s30, s24
	s_cselect_b32 s24, -1, 0
	s_cmp_eq_u32 s31, s25
	s_cselect_b32 s24, s24, s34
	s_cmp_lg_u32 s24, 0
	s_cselect_b32 s25, s37, s38
	s_cselect_b32 s24, s36, s33
	s_xor_b64 s[8:9], s[28:29], s[8:9]
	s_xor_b64 s[24:25], s[24:25], s[8:9]
	s_sub_u32 s24, s24, s8
	s_subb_u32 s25, s25, s9
	s_cbranch_execnz .LBB0_6
.LBB0_5:
	v_cvt_f32_u32_e32 v1, s20
	s_sub_i32 s8, 0, s20
	s_mov_b32 s25, 0
	v_rcp_iflag_f32_e32 v1, v1
	v_mul_f32_e32 v1, 0x4f7ffffe, v1
	v_cvt_u32_f32_e32 v1, v1
	v_readfirstlane_b32 s9, v1
	s_mul_i32 s8, s8, s9
	s_mul_hi_u32 s8, s9, s8
	s_add_i32 s9, s9, s8
	s_mul_hi_u32 s8, s2, s9
	s_mul_i32 s10, s8, s20
	s_sub_i32 s10, s2, s10
	s_add_i32 s9, s8, 1
	s_sub_i32 s11, s10, s20
	s_cmp_ge_u32 s10, s20
	s_cselect_b32 s8, s9, s8
	s_cselect_b32 s10, s11, s10
	s_add_i32 s9, s8, 1
	s_cmp_ge_u32 s10, s20
	s_cselect_b32 s24, s9, s8
.LBB0_6:
	s_load_dword s33, s[4:5], 0x54
	v_mov_b32_e32 v1, 0
	v_cmp_gt_i64_e32 vcc, s[22:23], v[0:1]
	v_mov_b32_e32 v3, 0
	v_mov_b32_e32 v4, 0
	s_and_saveexec_b64 s[8:9], vcc
	s_cbranch_execz .LBB0_10
; %bb.7:
	s_mul_i32 s10, s0, s27
	s_mul_hi_u32 s11, s0, s26
	s_add_i32 s10, s11, s10
	s_mul_i32 s11, s1, s26
	s_add_i32 s11, s10, s11
	s_mul_i32 s10, s0, s26
	s_lshl_b64 s[10:11], s[10:11], 3
	s_add_u32 s14, s14, s10
	s_addc_u32 s15, s15, s11
	s_mul_i32 s10, s24, s23
	s_mul_hi_u32 s11, s24, s22
	s_add_i32 s10, s11, s10
	s_mul_i32 s11, s25, s22
	s_load_dwordx2 s[4:5], s[4:5], 0x40
	s_add_i32 s11, s10, s11
	s_mul_i32 s10, s24, s22
	s_lshl_b64 s[10:11], s[10:11], 3
	s_add_u32 s80, s14, s10
	s_addc_u32 s14, s15, s11
	s_lshl_b64 s[10:11], s[22:23], 3
	s_add_u32 s10, s80, s10
	s_waitcnt lgkmcnt(0)
	s_mul_i32 s5, s0, s5
	s_mul_hi_u32 s15, s0, s4
	s_addc_u32 s11, s14, s11
	s_add_i32 s5, s15, s5
	s_mul_i32 s1, s1, s4
	s_add_i32 s1, s5, s1
	s_mul_i32 s0, s0, s4
	s_lshl_b64 s[0:1], s[0:1], 3
	s_add_u32 s4, s16, s0
	s_addc_u32 s5, s17, s1
	s_mul_i32 s0, s24, s21
	s_mul_hi_u32 s1, s24, s20
	s_add_i32 s0, s1, s0
	s_mul_i32 s1, s25, s20
	s_add_i32 s0, s0, s1
	s_mul_i32 s1, s24, s20
	s_sub_u32 s2, s2, s1
	s_subb_u32 s0, s3, s0
	s_mul_i32 s1, s2, s23
	s_mul_hi_u32 s3, s2, s22
	s_add_i32 s1, s3, s1
	s_mul_i32 s0, s0, s22
	s_add_i32 s1, s1, s0
	s_mul_i32 s0, s2, s22
	s_lshl_b64 s[0:1], s[0:1], 3
	v_lshlrev_b32_e32 v13, 3, v0
	s_add_u32 s81, s4, s0
	v_mov_b32_e32 v14, v1
	v_mov_b32_e32 v2, s14
	v_add_co_u32_e32 v1, vcc, s80, v13
	s_addc_u32 s0, s5, s1
	s_and_b32 s1, s33, 0xffff
	v_mov_b32_e32 v3, 0
	v_mov_b32_e32 v16, s14
	s_mov_b32 s14, 0x55555555
	s_mov_b32 s16, 0x4222de17
	;; [unrolled: 1-line block ×25, first 2 shown]
	v_addc_co_u32_e32 v2, vcc, 0, v2, vcc
	s_lshl_b32 s82, s1, 3
	v_mov_b32_e32 v4, 0
	s_mov_b64 s[4:5], 0
	v_mov_b32_e32 v15, s0
	v_mov_b32_e32 v17, 0x3ff00000
	;; [unrolled: 1-line block ×4, first 2 shown]
	s_mov_b32 s15, 0x3fe55555
	v_mov_b32_e32 v5, 0x968915a9
	v_mov_b32_e32 v6, 0x3fba6564
	s_mov_b32 s17, 0x3fbdee67
	s_mov_b32 s21, 0x3fbe25e4
	;; [unrolled: 1-line block ×12, first 2 shown]
	s_movk_i32 s83, 0x204
	s_mov_b32 s45, 0x7ff00000
	s_mov_b32 s47, 0x3ff71547
	;; [unrolled: 1-line block ×3, first 2 shown]
	v_mov_b32_e32 v7, 0xfca7ab0c
	v_mov_b32_e32 v8, 0x3e928af3
	s_mov_b32 s51, 0x3e5ade15
	s_mov_b32 s53, 0x3ec71dee
	;; [unrolled: 1-line block ×9, first 2 shown]
	v_mov_b32_e32 v20, 0x7ff00000
	v_mov_b32_e32 v21, 0x7ff80000
	s_lshl_b32 s84, s1, 3
	s_mov_b32 s69, 0x40900000
	s_mov_b32 s71, 0xc090cc00
	;; [unrolled: 1-line block ×3, first 2 shown]
.LBB0_8:                                ; =>This Inner Loop Header: Depth=1
	v_add_co_u32_e32 v11, vcc, s81, v13
	v_addc_co_u32_e32 v12, vcc, v15, v14, vcc
	v_add_co_u32_e32 v9, vcc, s80, v13
	v_addc_co_u32_e32 v10, vcc, v16, v14, vcc
	global_load_dwordx2 v[9:10], v[9:10], off
	s_nop 0
	global_load_dwordx2 v[11:12], v[11:12], off
	s_mov_b32 s40, s14
	s_mov_b32 s48, s36
	;; [unrolled: 1-line block ×3, first 2 shown]
	s_waitcnt vmcnt(0)
	v_add_f64 v[11:12], v[9:10], -v[11:12]
	v_cmp_neq_f64_e64 vcc, |v[11:12]|, 1.0
	v_cndmask_b32_e32 v10, v17, v18, vcc
	v_cndmask_b32_e32 v9, 0, v19, vcc
	v_cmp_neq_f64_e32 vcc, 0, v[9:10]
	v_cmp_neq_f64_e64 s[2:3], v[9:10], |v[9:10]|
	v_cmp_gt_f64_e64 s[0:1], 0, v[9:10]
	v_cndmask_b32_e32 v12, v17, v12, vcc
	v_cndmask_b32_e32 v11, 0, v11, vcc
	v_frexp_mant_f64_e64 v[23:24], |v[11:12]|
	v_frexp_exp_i32_f64_e32 v25, v[11:12]
	v_cmp_eq_f64_e64 s[74:75], |v[11:12]|, 0
	v_cmp_lt_f64_e64 s[86:87], |v[11:12]|, 1.0
	v_cmp_class_f64_e64 s[76:77], v[11:12], s83
	v_cmp_gt_f64_e32 vcc, s[14:15], v[23:24]
	s_xor_b64 s[78:79], s[0:1], s[74:75]
	s_xor_b64 s[0:1], s[2:3], s[86:87]
	v_cndmask_b32_e64 v22, v20, 0, s[0:1]
	v_cndmask_b32_e64 v26, 0, 1, vcc
	v_ldexp_f64 v[23:24], v[23:24], v26
	v_subbrev_co_u32_e32 v27, vcc, 0, v25, vcc
	v_cvt_f64_i32_e32 v[27:28], v27
	v_mul_f64 v[31:32], v[27:28], s[36:37]
	v_add_f64 v[25:26], v[23:24], 1.0
	v_add_f64 v[29:30], v[23:24], -1.0
	v_fma_f64 v[37:38], v[27:28], s[36:37], -v[31:32]
	v_rcp_f64_e32 v[33:34], v[25:26]
	v_add_f64 v[35:36], v[25:26], -1.0
	v_fma_f64 v[27:28], v[27:28], s[38:39], v[37:38]
	v_add_f64 v[23:24], v[23:24], -v[35:36]
	v_add_f64 v[37:38], v[31:32], v[27:28]
	v_fma_f64 v[35:36], -v[25:26], v[33:34], 1.0
	v_add_f64 v[31:32], v[37:38], -v[31:32]
	v_fma_f64 v[33:34], v[35:36], v[33:34], v[33:34]
	v_add_f64 v[27:28], v[27:28], -v[31:32]
	v_fma_f64 v[35:36], -v[25:26], v[33:34], 1.0
	v_fma_f64 v[31:32], v[35:36], v[33:34], v[33:34]
	v_mul_f64 v[33:34], v[29:30], v[31:32]
	v_mul_f64 v[35:36], v[25:26], v[33:34]
	v_fma_f64 v[25:26], v[33:34], v[25:26], -v[35:36]
	v_fma_f64 v[23:24], v[33:34], v[23:24], v[25:26]
	v_add_f64 v[25:26], v[35:36], v[23:24]
	v_add_f64 v[39:40], v[29:30], -v[25:26]
	v_add_f64 v[35:36], v[25:26], -v[35:36]
	;; [unrolled: 1-line block ×5, first 2 shown]
	v_add_f64 v[23:24], v[23:24], v[25:26]
	v_add_f64 v[23:24], v[39:40], v[23:24]
	v_mul_f64 v[23:24], v[31:32], v[23:24]
	v_add_f64 v[25:26], v[33:34], v[23:24]
	v_add_f64 v[29:30], v[25:26], -v[33:34]
	v_mul_f64 v[31:32], v[25:26], v[25:26]
	v_ldexp_f64 v[33:34], v[25:26], 1
	v_add_f64 v[23:24], v[23:24], -v[29:30]
	v_fma_f64 v[29:30], v[25:26], v[25:26], -v[31:32]
	v_add_f64 v[35:36], v[23:24], v[23:24]
	v_ldexp_f64 v[39:40], v[23:24], 1
	v_fma_f64 v[29:30], v[25:26], v[35:36], v[29:30]
	v_add_f64 v[35:36], v[31:32], v[29:30]
	v_fma_f64 v[41:42], v[35:36], s[16:17], v[5:6]
	v_add_f64 v[31:32], v[35:36], -v[31:32]
	v_mul_f64 v[43:44], v[25:26], v[35:36]
	v_fma_f64 v[41:42], v[35:36], v[41:42], s[20:21]
	v_add_f64 v[29:30], v[29:30], -v[31:32]
	v_fma_f64 v[31:32], v[35:36], v[25:26], -v[43:44]
	v_fma_f64 v[41:42], v[35:36], v[41:42], s[22:23]
	v_fma_f64 v[23:24], v[35:36], v[23:24], v[31:32]
	;; [unrolled: 1-line block ×5, first 2 shown]
	v_add_f64 v[31:32], v[43:44], v[23:24]
	v_fma_f64 v[25:26], v[35:36], v[25:26], s[28:29]
	v_add_f64 v[41:42], v[31:32], -v[43:44]
	v_fma_f64 v[25:26], v[35:36], v[25:26], s[30:31]
	v_add_f64 v[23:24], v[23:24], -v[41:42]
	v_fma_f64 v[25:26], v[35:36], v[25:26], s[34:35]
	v_mul_f64 v[41:42], v[35:36], v[25:26]
	v_fma_f64 v[35:36], v[35:36], v[25:26], -v[41:42]
	v_fma_f64 v[25:26], v[29:30], v[25:26], v[35:36]
	v_add_f64 v[29:30], v[41:42], v[25:26]
	v_add_f64 v[35:36], v[29:30], s[14:15]
	v_add_f64 v[41:42], v[29:30], -v[41:42]
	v_add_f64 v[43:44], v[35:36], s[40:41]
	v_add_f64 v[25:26], v[25:26], -v[41:42]
	v_add_f64 v[29:30], v[29:30], -v[43:44]
	v_add_f64 v[25:26], v[25:26], s[42:43]
	v_add_f64 v[25:26], v[25:26], v[29:30]
	;; [unrolled: 1-line block ×3, first 2 shown]
	v_add_f64 v[35:36], v[35:36], -v[29:30]
	v_mul_f64 v[41:42], v[31:32], v[29:30]
	v_add_f64 v[25:26], v[25:26], v[35:36]
	v_fma_f64 v[35:36], v[31:32], v[29:30], -v[41:42]
	v_fma_f64 v[25:26], v[31:32], v[25:26], v[35:36]
	v_fma_f64 v[23:24], v[23:24], v[29:30], v[25:26]
	v_add_f64 v[25:26], v[41:42], v[23:24]
	v_add_f64 v[29:30], v[33:34], v[25:26]
	v_add_f64 v[31:32], v[25:26], -v[41:42]
	v_add_f64 v[33:34], v[29:30], -v[33:34]
	;; [unrolled: 1-line block ×4, first 2 shown]
	v_add_f64 v[23:24], v[39:40], v[23:24]
	v_add_f64 v[23:24], v[23:24], v[25:26]
	;; [unrolled: 1-line block ×4, first 2 shown]
	v_add_f64 v[29:30], v[25:26], -v[29:30]
	v_add_f64 v[33:34], v[31:32], -v[37:38]
	;; [unrolled: 1-line block ×4, first 2 shown]
	v_add_f64 v[35:36], v[27:28], v[23:24]
	v_add_f64 v[25:26], v[25:26], -v[33:34]
	v_add_f64 v[29:30], v[37:38], -v[29:30]
	;; [unrolled: 1-line block ×3, first 2 shown]
	v_add_f64 v[25:26], v[25:26], v[29:30]
	v_add_f64 v[29:30], v[35:36], -v[33:34]
	v_add_f64 v[23:24], v[23:24], -v[33:34]
	v_add_f64 v[25:26], v[35:36], v[25:26]
	v_add_f64 v[27:28], v[27:28], -v[29:30]
	v_add_f64 v[29:30], v[31:32], v[25:26]
	v_add_f64 v[23:24], v[23:24], v[27:28]
	v_add_f64 v[27:28], v[29:30], -v[31:32]
	v_add_f64 v[25:26], v[25:26], -v[27:28]
	v_add_f64 v[23:24], v[23:24], v[25:26]
	v_add_f64 v[25:26], v[29:30], v[23:24]
	v_add_f64 v[27:28], v[25:26], -v[29:30]
	v_mul_f64 v[29:30], v[9:10], v[25:26]
	v_add_f64 v[23:24], v[23:24], -v[27:28]
	v_fma_f64 v[25:26], v[9:10], v[25:26], -v[29:30]
	v_cmp_class_f64_e64 vcc, v[29:30], s83
	v_fma_f64 v[23:24], v[9:10], v[23:24], v[25:26]
	v_add_f64 v[25:26], v[29:30], v[23:24]
	v_cndmask_b32_e32 v28, v26, v30, vcc
	v_cndmask_b32_e32 v27, v25, v29, vcc
	v_mul_f64 v[31:32], v[27:28], s[46:47]
	v_add_f64 v[25:26], v[25:26], -v[29:30]
	v_cmp_neq_f64_e64 vcc, |v[27:28]|, s[44:45]
	v_cmp_nlt_f64_e64 s[0:1], s[68:69], v[27:28]
	v_cmp_ngt_f64_e64 s[2:3], s[70:71], v[27:28]
	v_rndne_f64_e32 v[31:32], v[31:32]
	v_add_f64 v[23:24], v[23:24], -v[25:26]
	v_fma_f64 v[33:34], v[31:32], s[48:49], v[27:28]
	v_cvt_i32_f64_e32 v29, v[31:32]
	v_cndmask_b32_e32 v24, 0, v24, vcc
	v_cndmask_b32_e32 v23, 0, v23, vcc
	s_and_b64 vcc, s[2:3], s[0:1]
	v_fma_f64 v[33:34], v[31:32], s[72:73], v[33:34]
	v_fma_f64 v[35:36], v[33:34], s[50:51], v[7:8]
	;; [unrolled: 1-line block ×10, first 2 shown]
	v_fma_f64 v[35:36], v[33:34], v[35:36], 1.0
	v_fma_f64 v[25:26], v[33:34], v[35:36], 1.0
	v_ldexp_f64 v[25:26], v[25:26], v29
	v_cndmask_b32_e32 v25, 0, v25, vcc
	v_cmp_neq_f64_e64 vcc, |v[11:12]|, 1.0
	v_cndmask_b32_e64 v26, v20, v26, s[0:1]
	v_cndmask_b32_e64 v26, 0, v26, s[2:3]
	v_fma_f64 v[23:24], v[25:26], v[23:24], v[25:26]
	v_cmp_class_f64_e64 s[0:1], v[9:10], s83
	v_add_co_u32_e64 v13, s[2:3], s82, v13
	v_cndmask_b32_e32 v22, v17, v22, vcc
	v_cmp_class_f64_e64 vcc, v[25:26], s83
	v_cndmask_b32_e32 v24, v24, v26, vcc
	v_and_b32_e32 v24, 0x7fffffff, v24
	v_cndmask_b32_e64 v26, v20, 0, s[78:79]
	v_cndmask_b32_e32 v23, v23, v25, vcc
	v_cndmask_b32_e64 v22, v24, v22, s[0:1]
	s_or_b64 vcc, s[74:75], s[76:77]
	v_cndmask_b32_e32 v22, v22, v26, vcc
	s_or_b64 s[0:1], vcc, s[0:1]
	v_cmp_o_f64_e64 vcc, |v[11:12]|, v[9:10]
	v_cndmask_b32_e64 v23, v23, 0, s[0:1]
	v_add_co_u32_e64 v1, s[0:1], s84, v1
	v_cndmask_b32_e32 v9, 0, v23, vcc
	v_cndmask_b32_e32 v10, v21, v22, vcc
	v_add_f64 v[3:4], v[3:4], v[9:10]
	v_addc_co_u32_e64 v2, vcc, 0, v2, s[0:1]
	v_cmp_le_u64_e32 vcc, s[10:11], v[1:2]
	s_or_b64 s[4:5], vcc, s[4:5]
	v_addc_co_u32_e64 v14, vcc, 0, v14, s[2:3]
	s_andn2_b64 exec, exec, s[4:5]
	s_cbranch_execnz .LBB0_8
; %bb.9:
	s_or_b64 exec, exec, s[4:5]
.LBB0_10:
	s_or_b64 exec, exec, s[8:9]
	v_mbcnt_lo_u32_b32 v1, -1, 0
	v_mbcnt_hi_u32_b32 v10, -1, v1
	v_mov_b32_e32 v1, 0x80
	v_lshl_or_b32 v5, v10, 2, v1
	ds_bpermute_b32 v1, v5, v3
	ds_bpermute_b32 v2, v5, v4
	v_and_b32_e32 v12, 63, v10
	v_cmp_gt_u32_e32 vcc, 48, v12
	v_and_b32_e32 v11, 63, v0
	s_waitcnt lgkmcnt(0)
	v_add_f64 v[1:2], v[3:4], v[1:2]
	v_cndmask_b32_e64 v3, 0, 16, vcc
	v_add_lshl_u32 v6, v3, v10, 2
	v_cmp_gt_u32_e32 vcc, 56, v12
	s_barrier
	ds_bpermute_b32 v3, v6, v1
	ds_bpermute_b32 v4, v6, v2
	s_waitcnt lgkmcnt(0)
	v_add_f64 v[1:2], v[1:2], v[3:4]
	v_cndmask_b32_e64 v3, 0, 8, vcc
	v_add_lshl_u32 v7, v3, v10, 2
	v_cmp_gt_u32_e32 vcc, 60, v12
	ds_bpermute_b32 v3, v7, v1
	ds_bpermute_b32 v4, v7, v2
	s_waitcnt lgkmcnt(0)
	v_add_f64 v[1:2], v[1:2], v[3:4]
	v_cndmask_b32_e64 v3, 0, 4, vcc
	v_add_lshl_u32 v8, v3, v10, 2
	v_cmp_gt_u32_e32 vcc, 62, v12
	ds_bpermute_b32 v3, v8, v1
	ds_bpermute_b32 v4, v8, v2
	s_waitcnt lgkmcnt(0)
	v_add_f64 v[1:2], v[1:2], v[3:4]
	v_cndmask_b32_e64 v3, 0, 2, vcc
	v_add_lshl_u32 v9, v3, v10, 2
	v_cmp_ne_u32_e32 vcc, 63, v12
	ds_bpermute_b32 v3, v9, v1
	ds_bpermute_b32 v4, v9, v2
	s_waitcnt lgkmcnt(0)
	v_add_f64 v[1:2], v[1:2], v[3:4]
	v_addc_co_u32_e32 v3, vcc, 0, v10, vcc
	v_lshlrev_b32_e32 v10, 2, v3
	v_cmp_eq_u32_e32 vcc, 0, v11
	ds_bpermute_b32 v3, v10, v1
	ds_bpermute_b32 v4, v10, v2
	s_and_saveexec_b64 s[0:1], vcc
	s_cbranch_execz .LBB0_12
; %bb.11:
	s_waitcnt lgkmcnt(0)
	v_add_f64 v[1:2], v[1:2], v[3:4]
	v_lshrrev_b32_e32 v3, 3, v0
	ds_write_b64 v3, v[1:2]
.LBB0_12:
	s_or_b64 exec, exec, s[0:1]
	s_and_b32 s0, 0xffff, s33
	s_lshr_b32 s0, s0, 6
	s_waitcnt lgkmcnt(1)
	v_mov_b32_e32 v2, 0
	v_mov_b32_e32 v3, 0
	v_cmp_gt_u32_e32 vcc, s0, v0
	s_waitcnt lgkmcnt(0)
	s_barrier
	s_and_saveexec_b64 s[0:1], vcc
	s_cbranch_execnz .LBB0_16
; %bb.13:
	s_or_b64 exec, exec, s[0:1]
	v_cmp_gt_u32_e32 vcc, 64, v0
	s_and_saveexec_b64 s[0:1], vcc
	s_cbranch_execnz .LBB0_17
.LBB0_14:
	s_or_b64 exec, exec, s[0:1]
	v_cmp_eq_u32_e32 vcc, 0, v0
	s_and_saveexec_b64 s[0:1], vcc
	s_cbranch_execnz .LBB0_18
.LBB0_15:
	s_endpgm
.LBB0_16:
	v_lshlrev_b32_e32 v1, 3, v11
	ds_read_b64 v[2:3], v1
	s_or_b64 exec, exec, s[0:1]
	v_cmp_gt_u32_e32 vcc, 64, v0
	s_and_saveexec_b64 s[0:1], vcc
	s_cbranch_execz .LBB0_14
.LBB0_17:
	s_waitcnt lgkmcnt(0)
	ds_bpermute_b32 v4, v5, v2
	ds_bpermute_b32 v5, v5, v3
	s_waitcnt lgkmcnt(0)
	v_add_f64 v[1:2], v[2:3], v[4:5]
	ds_bpermute_b32 v3, v6, v1
	ds_bpermute_b32 v4, v6, v2
	s_waitcnt lgkmcnt(0)
	v_add_f64 v[1:2], v[1:2], v[3:4]
	;; [unrolled: 4-line block ×6, first 2 shown]
	s_or_b64 exec, exec, s[0:1]
	v_cmp_eq_u32_e32 vcc, 0, v0
	s_and_saveexec_b64 s[0:1], vcc
	s_cbranch_execz .LBB0_15
.LBB0_18:
	v_div_scale_f64 v[0:1], s[0:1], s[18:19], s[18:19], 1.0
	s_mov_b32 s1, 0x3fe55555
	s_mov_b32 s0, 0x55555555
	s_mov_b32 s2, 0x4222de17
	s_mov_b32 s3, 0x3fbdee67
	s_mov_b32 s4, 0x652b82fe
	s_mov_b32 s5, 0x3ff71547
	v_rcp_f64_e32 v[4:5], v[0:1]
	v_fma_f64 v[6:7], -v[0:1], v[4:5], 1.0
	v_fma_f64 v[4:5], v[4:5], v[6:7], v[4:5]
	v_div_scale_f64 v[6:7], vcc, 1.0, s[18:19], 1.0
	v_fma_f64 v[8:9], -v[0:1], v[4:5], 1.0
	v_fma_f64 v[4:5], v[4:5], v[8:9], v[4:5]
	v_mul_f64 v[8:9], v[6:7], v[4:5]
	v_fma_f64 v[0:1], -v[0:1], v[8:9], v[6:7]
	v_div_fmas_f64 v[0:1], v[0:1], v[4:5], v[8:9]
	s_waitcnt lgkmcnt(0)
	v_cmp_neq_f64_e32 vcc, 1.0, v[2:3]
	v_mov_b32_e32 v8, 0x3ff00000
	v_div_fixup_f64 v[0:1], v[0:1], s[18:19], 1.0
	s_movk_i32 s18, 0x204
	s_brev_b32 s19, -2
	v_cndmask_b32_e32 v1, v8, v1, vcc
	v_cndmask_b32_e32 v0, 0, v0, vcc
	v_cmp_neq_f64_e32 vcc, 0, v[0:1]
	v_cmp_neq_f64_e64 s[10:11], v[0:1], |v[0:1]|
	v_cndmask_b32_e32 v3, v8, v3, vcc
	v_cndmask_b32_e32 v2, 0, v2, vcc
	v_frexp_mant_f64_e64 v[4:5], |v[2:3]|
	v_cmp_lt_f64_e64 s[14:15], |v[2:3]|, 1.0
	v_cmp_class_f64_e64 s[16:17], v[2:3], s18
	v_cmp_gt_f64_e32 vcc, s[0:1], v[4:5]
	v_cndmask_b32_e64 v6, 0, 1, vcc
	v_ldexp_f64 v[4:5], v[4:5], v6
	v_add_f64 v[6:7], v[4:5], 1.0
	v_add_f64 v[13:14], v[4:5], -1.0
	v_rcp_f64_e32 v[9:10], v[6:7]
	v_add_f64 v[15:16], v[6:7], -1.0
	v_add_f64 v[4:5], v[4:5], -v[15:16]
	v_fma_f64 v[11:12], -v[6:7], v[9:10], 1.0
	v_fma_f64 v[9:10], v[11:12], v[9:10], v[9:10]
	v_fma_f64 v[11:12], -v[6:7], v[9:10], 1.0
	v_fma_f64 v[9:10], v[11:12], v[9:10], v[9:10]
	v_mul_f64 v[11:12], v[13:14], v[9:10]
	v_mul_f64 v[17:18], v[6:7], v[11:12]
	v_fma_f64 v[6:7], v[11:12], v[6:7], -v[17:18]
	v_fma_f64 v[4:5], v[11:12], v[4:5], v[6:7]
	v_add_f64 v[6:7], v[17:18], v[4:5]
	v_add_f64 v[15:16], v[13:14], -v[6:7]
	v_add_f64 v[17:18], v[6:7], -v[17:18]
	v_add_f64 v[13:14], v[13:14], -v[15:16]
	v_add_f64 v[4:5], v[17:18], -v[4:5]
	v_add_f64 v[6:7], v[13:14], -v[6:7]
	v_add_f64 v[4:5], v[4:5], v[6:7]
	v_add_f64 v[4:5], v[15:16], v[4:5]
	v_mov_b32_e32 v15, 0x968915a9
	v_mov_b32_e32 v16, 0x3fba6564
	v_mul_f64 v[4:5], v[9:10], v[4:5]
	v_add_f64 v[6:7], v[11:12], v[4:5]
	v_add_f64 v[9:10], v[6:7], -v[11:12]
	v_mul_f64 v[11:12], v[6:7], v[6:7]
	v_add_f64 v[4:5], v[4:5], -v[9:10]
	v_fma_f64 v[9:10], v[6:7], v[6:7], -v[11:12]
	v_add_f64 v[13:14], v[4:5], v[4:5]
	v_fma_f64 v[9:10], v[6:7], v[13:14], v[9:10]
	v_add_f64 v[13:14], v[11:12], v[9:10]
	v_fma_f64 v[15:16], v[13:14], s[2:3], v[15:16]
	s_mov_b32 s2, 0x3abe935a
	s_mov_b32 s3, 0x3fbe25e4
	v_add_f64 v[11:12], v[13:14], -v[11:12]
	v_mul_f64 v[21:22], v[6:7], v[13:14]
	v_fma_f64 v[15:16], v[13:14], v[15:16], s[2:3]
	s_mov_b32 s2, 0x47e6c9c2
	s_mov_b32 s3, 0x3fc110ef
	v_add_f64 v[9:10], v[9:10], -v[11:12]
	v_fma_f64 v[15:16], v[13:14], v[15:16], s[2:3]
	s_mov_b32 s2, 0xcfa74449
	s_mov_b32 s3, 0x3fc3b13b
	v_fma_f64 v[15:16], v[13:14], v[15:16], s[2:3]
	s_mov_b32 s2, 0x71bf3c30
	s_mov_b32 s3, 0x3fc745d1
	;; [unrolled: 3-line block ×6, first 2 shown]
	v_mul_f64 v[17:18], v[13:14], v[15:16]
	v_fma_f64 v[11:12], v[13:14], v[15:16], -v[17:18]
	v_fma_f64 v[11:12], v[9:10], v[15:16], v[11:12]
	v_add_f64 v[15:16], v[17:18], v[11:12]
	v_add_f64 v[19:20], v[15:16], s[0:1]
	v_add_f64 v[17:18], v[15:16], -v[17:18]
	s_mov_b32 s1, 0xbfe55555
	v_add_f64 v[23:24], v[19:20], s[0:1]
	v_add_f64 v[11:12], v[11:12], -v[17:18]
	v_fma_f64 v[17:18], v[13:14], v[6:7], -v[21:22]
	s_mov_b32 s0, 0xd5df274d
	s_mov_b32 s1, 0x3c8543b0
	v_add_f64 v[15:16], v[15:16], -v[23:24]
	v_add_f64 v[11:12], v[11:12], s[0:1]
	v_fma_f64 v[13:14], v[13:14], v[4:5], v[17:18]
	s_mov_b32 s1, 0x3fe62e42
	s_mov_b32 s0, 0xfefa39ef
	v_ldexp_f64 v[4:5], v[4:5], 1
	v_add_f64 v[11:12], v[11:12], v[15:16]
	v_fma_f64 v[9:10], v[9:10], v[6:7], v[13:14]
	v_ldexp_f64 v[6:7], v[6:7], 1
	v_add_f64 v[13:14], v[19:20], v[11:12]
	v_add_f64 v[15:16], v[21:22], v[9:10]
	v_add_f64 v[17:18], v[19:20], -v[13:14]
	v_mul_f64 v[19:20], v[15:16], v[13:14]
	v_add_f64 v[21:22], v[15:16], -v[21:22]
	v_add_f64 v[11:12], v[11:12], v[17:18]
	v_fma_f64 v[17:18], v[15:16], v[13:14], -v[19:20]
	v_add_f64 v[9:10], v[9:10], -v[21:22]
	v_fma_f64 v[11:12], v[15:16], v[11:12], v[17:18]
	v_fma_f64 v[9:10], v[9:10], v[13:14], v[11:12]
	v_frexp_exp_i32_f64_e32 v13, v[2:3]
	v_add_f64 v[11:12], v[19:20], v[9:10]
	v_subbrev_co_u32_e32 v17, vcc, 0, v13, vcc
	v_cvt_f64_i32_e32 v[17:18], v17
	v_add_f64 v[13:14], v[6:7], v[11:12]
	v_add_f64 v[15:16], v[11:12], -v[19:20]
	v_mul_f64 v[19:20], v[17:18], s[0:1]
	v_add_f64 v[6:7], v[13:14], -v[6:7]
	v_add_f64 v[9:10], v[9:10], -v[15:16]
	v_fma_f64 v[15:16], v[17:18], s[0:1], -v[19:20]
	s_mov_b32 s1, 0xbfe62e42
	v_add_f64 v[6:7], v[11:12], -v[6:7]
	v_add_f64 v[4:5], v[4:5], v[9:10]
	v_fma_f64 v[9:10], v[17:18], s[2:3], v[15:16]
	s_mov_b32 s3, 0xbc7abc9e
	v_add_f64 v[4:5], v[4:5], v[6:7]
	v_add_f64 v[6:7], v[19:20], v[9:10]
	;; [unrolled: 1-line block ×3, first 2 shown]
	v_add_f64 v[19:20], v[6:7], -v[19:20]
	v_add_f64 v[15:16], v[6:7], v[11:12]
	v_add_f64 v[13:14], v[11:12], -v[13:14]
	v_add_f64 v[9:10], v[9:10], -v[19:20]
	v_mov_b32_e32 v19, 0x7ff00000
	v_add_f64 v[17:18], v[15:16], -v[6:7]
	v_add_f64 v[4:5], v[4:5], -v[13:14]
	;; [unrolled: 1-line block ×4, first 2 shown]
	v_add_f64 v[13:14], v[9:10], v[4:5]
	v_add_f64 v[6:7], v[6:7], -v[21:22]
	v_add_f64 v[6:7], v[11:12], v[6:7]
	v_add_f64 v[11:12], v[13:14], -v[9:10]
	;; [unrolled: 2-line block ×3, first 2 shown]
	v_add_f64 v[4:5], v[4:5], -v[11:12]
	v_add_f64 v[17:18], v[15:16], v[6:7]
	v_add_f64 v[9:10], v[9:10], -v[13:14]
	v_add_f64 v[11:12], v[17:18], -v[15:16]
	v_add_f64 v[4:5], v[4:5], v[9:10]
	v_add_f64 v[6:7], v[6:7], -v[11:12]
	v_add_f64 v[4:5], v[4:5], v[6:7]
	v_add_f64 v[6:7], v[17:18], v[4:5]
	v_add_f64 v[9:10], v[6:7], -v[17:18]
	v_mul_f64 v[11:12], v[0:1], v[6:7]
	v_mov_b32_e32 v17, 0xfca7ab0c
	v_mov_b32_e32 v18, 0x3e928af3
	v_add_f64 v[4:5], v[4:5], -v[9:10]
	v_fma_f64 v[6:7], v[0:1], v[6:7], -v[11:12]
	v_cmp_class_f64_e64 vcc, v[11:12], s18
	v_fma_f64 v[4:5], v[0:1], v[4:5], v[6:7]
	v_add_f64 v[6:7], v[11:12], v[4:5]
	v_cndmask_b32_e32 v10, v7, v12, vcc
	v_cndmask_b32_e32 v9, v6, v11, vcc
	v_mul_f64 v[13:14], v[9:10], s[4:5]
	v_add_f64 v[6:7], v[6:7], -v[11:12]
	s_mov_b32 s4, 0
	s_mov_b32 s5, 0xc090cc00
	v_rndne_f64_e32 v[13:14], v[13:14]
	v_add_f64 v[4:5], v[4:5], -v[6:7]
	v_fma_f64 v[15:16], v[13:14], s[0:1], v[9:10]
	s_mov_b32 s0, 0x6a5dcb37
	s_mov_b32 s1, 0x3e5ade15
	v_cvt_i32_f64_e32 v11, v[13:14]
	v_fma_f64 v[15:16], v[13:14], s[2:3], v[15:16]
	s_mov_b32 s2, 0
	s_mov_b32 s3, 0x40900000
	v_trunc_f64_e32 v[13:14], v[0:1]
	v_fma_f64 v[17:18], v[15:16], s[0:1], v[17:18]
	s_mov_b32 s0, 0x623fde64
	s_mov_b32 s1, 0x3ec71dee
	v_fma_f64 v[17:18], v[15:16], v[17:18], s[0:1]
	s_mov_b32 s0, 0x7c89e6b0
	s_mov_b32 s1, 0x3efa0199
	;; [unrolled: 3-line block ×9, first 2 shown]
	v_cmp_neq_f64_e64 vcc, |v[9:10]|, s[0:1]
	v_cmp_nlt_f64_e64 s[0:1], s[2:3], v[9:10]
	v_cmp_ngt_f64_e64 s[2:3], s[4:5], v[9:10]
	v_cmp_eq_f64_e64 s[4:5], v[13:14], v[0:1]
	v_mov_b32_e32 v9, 0x7ff80000
	v_fma_f64 v[17:18], v[15:16], v[17:18], 1.0
	v_cndmask_b32_e32 v5, 0, v5, vcc
	v_cndmask_b32_e32 v4, 0, v4, vcc
	s_and_b64 vcc, s[2:3], s[0:1]
	v_fma_f64 v[15:16], v[15:16], v[17:18], 1.0
	v_mul_f64 v[17:18], v[0:1], 0.5
	v_ldexp_f64 v[11:12], v[15:16], v11
	v_trunc_f64_e32 v[15:16], v[17:18]
	v_cndmask_b32_e64 v6, v19, v12, s[0:1]
	v_cndmask_b32_e64 v7, 0, v6, s[2:3]
	v_cndmask_b32_e32 v6, 0, v11, vcc
	v_fma_f64 v[4:5], v[6:7], v[4:5], v[6:7]
	v_cmp_class_f64_e64 vcc, v[6:7], s18
	v_cmp_neq_f64_e64 s[8:9], v[15:16], v[17:18]
	v_cmp_gt_f64_e64 s[0:1], 0, v[0:1]
	v_cndmask_b32_e32 v4, v4, v6, vcc
	v_cndmask_b32_e32 v5, v5, v7, vcc
	v_cmp_gt_f64_e32 vcc, 0, v[2:3]
	s_and_b64 s[2:3], s[4:5], s[8:9]
	v_cndmask_b32_e64 v10, v8, v3, s[2:3]
	v_bfi_b32 v5, s19, v5, v10
	v_cndmask_b32_e64 v6, v9, v5, s[4:5]
	v_cndmask_b32_e64 v7, 0, v4, s[4:5]
	v_cmp_eq_f64_e64 s[4:5], 0, v[2:3]
	s_xor_b64 s[8:9], s[10:11], s[14:15]
	v_cndmask_b32_e64 v10, v19, 0, s[8:9]
	v_cmp_neq_f64_e64 s[8:9], |v[2:3]|, 1.0
	v_cndmask_b32_e32 v4, v4, v7, vcc
	v_cndmask_b32_e32 v5, v5, v6, vcc
	v_cmp_class_f64_e64 vcc, v[0:1], s18
	v_cndmask_b32_e64 v7, 0, v3, s[2:3]
	s_xor_b64 s[0:1], s[0:1], s[4:5]
	v_cndmask_b32_e64 v6, v19, 0, s[0:1]
	v_bfi_b32 v6, s19, v6, v7
	v_cndmask_b32_e64 v8, v8, v10, s[8:9]
	s_or_b64 s[0:1], s[4:5], s[16:17]
	v_cndmask_b32_e32 v5, v5, v8, vcc
	v_cndmask_b32_e64 v5, v5, v6, s[0:1]
	s_or_b64 s[0:1], s[0:1], vcc
	v_cmp_o_f64_e32 vcc, v[2:3], v[0:1]
	v_cndmask_b32_e64 v4, v4, 0, s[0:1]
	s_lshl_b64 s[0:1], s[6:7], 3
	s_add_u32 s0, s12, s0
	s_addc_u32 s1, s13, s1
	v_mov_b32_e32 v2, 0
	v_cndmask_b32_e32 v0, 0, v4, vcc
	v_cndmask_b32_e32 v1, v9, v5, vcc
	global_store_dwordx2 v2, v[0:1], s[0:1]
	s_endpgm
.LBB0_19:
                                        ; implicit-def: $sgpr0_sgpr1
	s_branch .LBB0_2
.LBB0_20:
                                        ; implicit-def: $sgpr24_sgpr25
	s_branch .LBB0_5
	.section	.rodata,"a",@progbits
	.p2align	6, 0x0
	.amdhsa_kernel _ZN2at6native12_GLOBAL__N_122cdist_kernel_cuda_implIdNS1_5distsIdE1pEEEvPT_PKS6_S9_S6_lllll
		.amdhsa_group_segment_fixed_size 2048
		.amdhsa_private_segment_fixed_size 0
		.amdhsa_kernarg_size 328
		.amdhsa_user_sgpr_count 6
		.amdhsa_user_sgpr_private_segment_buffer 1
		.amdhsa_user_sgpr_dispatch_ptr 0
		.amdhsa_user_sgpr_queue_ptr 0
		.amdhsa_user_sgpr_kernarg_segment_ptr 1
		.amdhsa_user_sgpr_dispatch_id 0
		.amdhsa_user_sgpr_flat_scratch_init 0
		.amdhsa_user_sgpr_private_segment_size 0
		.amdhsa_uses_dynamic_stack 0
		.amdhsa_system_sgpr_private_segment_wavefront_offset 0
		.amdhsa_system_sgpr_workgroup_id_x 1
		.amdhsa_system_sgpr_workgroup_id_y 0
		.amdhsa_system_sgpr_workgroup_id_z 0
		.amdhsa_system_sgpr_workgroup_info 0
		.amdhsa_system_vgpr_workitem_id 0
		.amdhsa_next_free_vgpr 45
		.amdhsa_next_free_sgpr 88
		.amdhsa_reserve_vcc 1
		.amdhsa_reserve_flat_scratch 0
		.amdhsa_float_round_mode_32 0
		.amdhsa_float_round_mode_16_64 0
		.amdhsa_float_denorm_mode_32 3
		.amdhsa_float_denorm_mode_16_64 3
		.amdhsa_dx10_clamp 1
		.amdhsa_ieee_mode 1
		.amdhsa_fp16_overflow 0
		.amdhsa_exception_fp_ieee_invalid_op 0
		.amdhsa_exception_fp_denorm_src 0
		.amdhsa_exception_fp_ieee_div_zero 0
		.amdhsa_exception_fp_ieee_overflow 0
		.amdhsa_exception_fp_ieee_underflow 0
		.amdhsa_exception_fp_ieee_inexact 0
		.amdhsa_exception_int_div_zero 0
	.end_amdhsa_kernel
	.section	.text._ZN2at6native12_GLOBAL__N_122cdist_kernel_cuda_implIdNS1_5distsIdE1pEEEvPT_PKS6_S9_S6_lllll,"axG",@progbits,_ZN2at6native12_GLOBAL__N_122cdist_kernel_cuda_implIdNS1_5distsIdE1pEEEvPT_PKS6_S9_S6_lllll,comdat
.Lfunc_end0:
	.size	_ZN2at6native12_GLOBAL__N_122cdist_kernel_cuda_implIdNS1_5distsIdE1pEEEvPT_PKS6_S9_S6_lllll, .Lfunc_end0-_ZN2at6native12_GLOBAL__N_122cdist_kernel_cuda_implIdNS1_5distsIdE1pEEEvPT_PKS6_S9_S6_lllll
                                        ; -- End function
	.set _ZN2at6native12_GLOBAL__N_122cdist_kernel_cuda_implIdNS1_5distsIdE1pEEEvPT_PKS6_S9_S6_lllll.num_vgpr, 45
	.set _ZN2at6native12_GLOBAL__N_122cdist_kernel_cuda_implIdNS1_5distsIdE1pEEEvPT_PKS6_S9_S6_lllll.num_agpr, 0
	.set _ZN2at6native12_GLOBAL__N_122cdist_kernel_cuda_implIdNS1_5distsIdE1pEEEvPT_PKS6_S9_S6_lllll.numbered_sgpr, 88
	.set _ZN2at6native12_GLOBAL__N_122cdist_kernel_cuda_implIdNS1_5distsIdE1pEEEvPT_PKS6_S9_S6_lllll.num_named_barrier, 0
	.set _ZN2at6native12_GLOBAL__N_122cdist_kernel_cuda_implIdNS1_5distsIdE1pEEEvPT_PKS6_S9_S6_lllll.private_seg_size, 0
	.set _ZN2at6native12_GLOBAL__N_122cdist_kernel_cuda_implIdNS1_5distsIdE1pEEEvPT_PKS6_S9_S6_lllll.uses_vcc, 1
	.set _ZN2at6native12_GLOBAL__N_122cdist_kernel_cuda_implIdNS1_5distsIdE1pEEEvPT_PKS6_S9_S6_lllll.uses_flat_scratch, 0
	.set _ZN2at6native12_GLOBAL__N_122cdist_kernel_cuda_implIdNS1_5distsIdE1pEEEvPT_PKS6_S9_S6_lllll.has_dyn_sized_stack, 0
	.set _ZN2at6native12_GLOBAL__N_122cdist_kernel_cuda_implIdNS1_5distsIdE1pEEEvPT_PKS6_S9_S6_lllll.has_recursion, 0
	.set _ZN2at6native12_GLOBAL__N_122cdist_kernel_cuda_implIdNS1_5distsIdE1pEEEvPT_PKS6_S9_S6_lllll.has_indirect_call, 0
	.section	.AMDGPU.csdata,"",@progbits
; Kernel info:
; codeLenInByte = 6140
; TotalNumSgprs: 92
; NumVgprs: 45
; ScratchSize: 0
; MemoryBound: 0
; FloatMode: 240
; IeeeMode: 1
; LDSByteSize: 2048 bytes/workgroup (compile time only)
; SGPRBlocks: 11
; VGPRBlocks: 11
; NumSGPRsForWavesPerEU: 92
; NumVGPRsForWavesPerEU: 45
; Occupancy: 5
; WaveLimiterHint : 0
; COMPUTE_PGM_RSRC2:SCRATCH_EN: 0
; COMPUTE_PGM_RSRC2:USER_SGPR: 6
; COMPUTE_PGM_RSRC2:TRAP_HANDLER: 0
; COMPUTE_PGM_RSRC2:TGID_X_EN: 1
; COMPUTE_PGM_RSRC2:TGID_Y_EN: 0
; COMPUTE_PGM_RSRC2:TGID_Z_EN: 0
; COMPUTE_PGM_RSRC2:TIDIG_COMP_CNT: 0
	.section	.text._ZN2at6native12_GLOBAL__N_122cdist_kernel_cuda_implIdNS1_5distsIdE4zeroEEEvPT_PKS6_S9_S6_lllll,"axG",@progbits,_ZN2at6native12_GLOBAL__N_122cdist_kernel_cuda_implIdNS1_5distsIdE4zeroEEEvPT_PKS6_S9_S6_lllll,comdat
	.globl	_ZN2at6native12_GLOBAL__N_122cdist_kernel_cuda_implIdNS1_5distsIdE4zeroEEEvPT_PKS6_S9_S6_lllll ; -- Begin function _ZN2at6native12_GLOBAL__N_122cdist_kernel_cuda_implIdNS1_5distsIdE4zeroEEEvPT_PKS6_S9_S6_lllll
	.p2align	8
	.type	_ZN2at6native12_GLOBAL__N_122cdist_kernel_cuda_implIdNS1_5distsIdE4zeroEEEvPT_PKS6_S9_S6_lllll,@function
_ZN2at6native12_GLOBAL__N_122cdist_kernel_cuda_implIdNS1_5distsIdE4zeroEEEvPT_PKS6_S9_S6_lllll: ; @_ZN2at6native12_GLOBAL__N_122cdist_kernel_cuda_implIdNS1_5distsIdE4zeroEEEvPT_PKS6_S9_S6_lllll
; %bb.0:
	s_load_dwordx8 s[8:15], s[4:5], 0x20
	s_load_dwordx2 s[0:1], s[4:5], 0x40
	s_mov_b32 s7, 0
	s_mov_b32 s2, s7
	s_waitcnt lgkmcnt(0)
	s_mov_b32 s3, s13
	s_cmp_lg_u64 s[2:3], 0
	s_cbranch_scc0 .LBB1_23
; %bb.1:
	s_ashr_i32 s2, s13, 31
	s_add_u32 s16, s12, s2
	s_mov_b32 s3, s2
	s_addc_u32 s17, s13, s2
	s_xor_b64 s[18:19], s[16:17], s[2:3]
	v_cvt_f32_u32_e32 v1, s18
	v_cvt_f32_u32_e32 v2, s19
	s_sub_u32 s22, 0, s18
	s_subb_u32 s23, 0, s19
	v_madmk_f32 v1, v2, 0x4f800000, v1
	v_rcp_f32_e32 v1, v1
	v_mul_f32_e32 v1, 0x5f7ffffc, v1
	v_mul_f32_e32 v2, 0x2f800000, v1
	v_trunc_f32_e32 v2, v2
	v_madmk_f32 v1, v2, 0xcf800000, v1
	v_cvt_u32_f32_e32 v2, v2
	v_cvt_u32_f32_e32 v1, v1
	v_readfirstlane_b32 s24, v2
	v_readfirstlane_b32 s20, v1
	s_mul_i32 s21, s22, s24
	s_mul_hi_u32 s26, s22, s20
	s_mul_i32 s25, s23, s20
	s_add_i32 s21, s26, s21
	s_add_i32 s21, s21, s25
	s_mul_i32 s27, s22, s20
	s_mul_i32 s26, s20, s21
	s_mul_hi_u32 s28, s20, s27
	s_mul_hi_u32 s25, s20, s21
	s_add_u32 s26, s28, s26
	s_addc_u32 s25, 0, s25
	s_mul_hi_u32 s29, s24, s27
	s_mul_i32 s27, s24, s27
	s_add_u32 s26, s26, s27
	s_mul_hi_u32 s28, s24, s21
	s_addc_u32 s25, s25, s29
	s_addc_u32 s26, s28, 0
	s_mul_i32 s21, s24, s21
	s_add_u32 s21, s25, s21
	s_addc_u32 s25, 0, s26
	s_add_u32 s26, s20, s21
	s_cselect_b64 s[20:21], -1, 0
	s_cmp_lg_u64 s[20:21], 0
	s_addc_u32 s24, s24, s25
	s_mul_i32 s20, s22, s24
	s_mul_hi_u32 s21, s22, s26
	s_add_i32 s20, s21, s20
	s_mul_i32 s23, s23, s26
	s_add_i32 s20, s20, s23
	s_mul_i32 s22, s22, s26
	s_mul_hi_u32 s23, s24, s22
	s_mul_i32 s25, s24, s22
	s_mul_i32 s28, s26, s20
	s_mul_hi_u32 s22, s26, s22
	s_mul_hi_u32 s27, s26, s20
	s_add_u32 s22, s22, s28
	s_addc_u32 s27, 0, s27
	s_add_u32 s22, s22, s25
	s_mul_hi_u32 s21, s24, s20
	s_addc_u32 s22, s27, s23
	s_addc_u32 s21, s21, 0
	s_mul_i32 s20, s24, s20
	s_add_u32 s20, s22, s20
	s_addc_u32 s22, 0, s21
	s_add_u32 s23, s26, s20
	s_cselect_b64 s[20:21], -1, 0
	s_cmp_lg_u64 s[20:21], 0
	s_addc_u32 s22, s24, s22
	s_add_u32 s20, s6, 0
	s_addc_u32 s21, 0, 0
	s_xor_b64 s[20:21], s[20:21], 0
	s_mul_i32 s25, s20, s22
	s_mul_hi_u32 s26, s20, s23
	s_mul_hi_u32 s24, s20, s22
	s_add_u32 s25, s26, s25
	s_addc_u32 s24, 0, s24
	s_mul_hi_u32 s27, s21, s23
	s_mul_i32 s23, s21, s23
	s_add_u32 s23, s25, s23
	s_mul_hi_u32 s26, s21, s22
	s_addc_u32 s23, s24, s27
	s_addc_u32 s24, s26, 0
	s_mul_i32 s22, s21, s22
	s_add_u32 s26, s23, s22
	s_addc_u32 s27, 0, s24
	s_mul_i32 s22, s18, s27
	s_mul_hi_u32 s23, s18, s26
	s_add_i32 s22, s23, s22
	s_mul_i32 s23, s19, s26
	s_add_i32 s28, s22, s23
	s_sub_i32 s24, s21, s28
	s_mul_i32 s22, s18, s26
	s_sub_u32 s20, s20, s22
	s_cselect_b64 s[22:23], -1, 0
	s_cmp_lg_u64 s[22:23], 0
	s_subb_u32 s29, s24, s19
	s_sub_u32 s30, s20, s18
	s_cselect_b64 s[24:25], -1, 0
	s_cmp_lg_u64 s[24:25], 0
	s_subb_u32 s24, s29, 0
	s_cmp_ge_u32 s24, s19
	s_cselect_b32 s25, -1, 0
	s_cmp_ge_u32 s30, s18
	s_cselect_b32 s29, -1, 0
	s_cmp_eq_u32 s24, s19
	s_cselect_b32 s24, s29, s25
	s_add_u32 s25, s26, 1
	s_addc_u32 s29, s27, 0
	s_add_u32 s30, s26, 2
	s_addc_u32 s31, s27, 0
	s_cmp_lg_u32 s24, 0
	s_cselect_b32 s24, s30, s25
	s_cselect_b32 s25, s31, s29
	s_cmp_lg_u64 s[22:23], 0
	s_subb_u32 s21, s21, s28
	s_cmp_ge_u32 s21, s19
	s_cselect_b32 s22, -1, 0
	s_cmp_ge_u32 s20, s18
	s_cselect_b32 s18, -1, 0
	s_cmp_eq_u32 s21, s19
	s_cselect_b32 s18, s18, s22
	s_cmp_lg_u32 s18, 0
	s_cselect_b32 s19, s25, s27
	s_cselect_b32 s18, s24, s26
	s_xor_b64 s[2:3], 0, s[2:3]
	s_xor_b64 s[18:19], s[18:19], s[2:3]
	s_sub_u32 s2, s18, s2
	s_subb_u32 s3, s19, s3
	s_cbranch_execnz .LBB1_3
.LBB1_2:
	v_cvt_f32_u32_e32 v1, s12
	s_sub_i32 s2, 0, s12
	s_mov_b32 s3, 0
	v_rcp_iflag_f32_e32 v1, v1
	v_mul_f32_e32 v1, 0x4f7ffffe, v1
	v_cvt_u32_f32_e32 v1, v1
	v_readfirstlane_b32 s16, v1
	s_mul_i32 s2, s2, s16
	s_mul_hi_u32 s2, s16, s2
	s_add_i32 s16, s16, s2
	s_mul_hi_u32 s2, s6, s16
	s_mul_i32 s17, s2, s12
	s_sub_i32 s17, s6, s17
	s_add_i32 s16, s2, 1
	s_sub_i32 s18, s17, s12
	s_cmp_ge_u32 s17, s12
	s_cselect_b32 s2, s16, s2
	s_cselect_b32 s17, s18, s17
	s_add_i32 s16, s2, 1
	s_cmp_ge_u32 s17, s12
	s_cselect_b32 s2, s16, s2
.LBB1_3:
	s_mul_i32 s13, s2, s13
	s_mul_hi_u32 s16, s2, s12
	s_add_i32 s13, s16, s13
	s_mul_i32 s16, s3, s12
	s_add_i32 s13, s13, s16
	s_mul_i32 s12, s2, s12
	s_sub_u32 s12, s6, s12
	s_subb_u32 s13, 0, s13
	s_or_b64 s[16:17], s[12:13], s[8:9]
	s_mov_b32 s16, 0
	s_cmp_lg_u64 s[16:17], 0
	s_cbranch_scc0 .LBB1_24
; %bb.4:
	s_ashr_i32 s16, s9, 31
	s_add_u32 s18, s8, s16
	s_mov_b32 s17, s16
	s_addc_u32 s19, s9, s16
	s_xor_b64 s[20:21], s[18:19], s[16:17]
	v_cvt_f32_u32_e32 v1, s20
	v_cvt_f32_u32_e32 v2, s21
	s_sub_u32 s24, 0, s20
	s_subb_u32 s25, 0, s21
	v_madmk_f32 v1, v2, 0x4f800000, v1
	v_rcp_f32_e32 v1, v1
	v_mul_f32_e32 v1, 0x5f7ffffc, v1
	v_mul_f32_e32 v2, 0x2f800000, v1
	v_trunc_f32_e32 v2, v2
	v_madmk_f32 v1, v2, 0xcf800000, v1
	v_cvt_u32_f32_e32 v2, v2
	v_cvt_u32_f32_e32 v1, v1
	v_readfirstlane_b32 s26, v2
	v_readfirstlane_b32 s22, v1
	s_mul_i32 s23, s24, s26
	s_mul_hi_u32 s28, s24, s22
	s_mul_i32 s27, s25, s22
	s_add_i32 s23, s28, s23
	s_add_i32 s23, s23, s27
	s_mul_i32 s29, s24, s22
	s_mul_i32 s28, s22, s23
	s_mul_hi_u32 s30, s22, s29
	s_mul_hi_u32 s27, s22, s23
	s_add_u32 s28, s30, s28
	s_addc_u32 s27, 0, s27
	s_mul_hi_u32 s31, s26, s29
	s_mul_i32 s29, s26, s29
	s_add_u32 s28, s28, s29
	s_mul_hi_u32 s30, s26, s23
	s_addc_u32 s27, s27, s31
	s_addc_u32 s28, s30, 0
	s_mul_i32 s23, s26, s23
	s_add_u32 s23, s27, s23
	s_addc_u32 s27, 0, s28
	s_add_u32 s28, s22, s23
	s_cselect_b64 s[22:23], -1, 0
	s_cmp_lg_u64 s[22:23], 0
	s_addc_u32 s26, s26, s27
	s_mul_i32 s22, s24, s26
	s_mul_hi_u32 s23, s24, s28
	s_add_i32 s22, s23, s22
	s_mul_i32 s25, s25, s28
	s_add_i32 s22, s22, s25
	s_mul_i32 s24, s24, s28
	s_mul_hi_u32 s25, s26, s24
	s_mul_i32 s27, s26, s24
	s_mul_i32 s30, s28, s22
	s_mul_hi_u32 s24, s28, s24
	s_mul_hi_u32 s29, s28, s22
	s_add_u32 s24, s24, s30
	s_addc_u32 s29, 0, s29
	s_add_u32 s24, s24, s27
	s_mul_hi_u32 s23, s26, s22
	s_addc_u32 s24, s29, s25
	s_addc_u32 s23, s23, 0
	s_mul_i32 s22, s26, s22
	s_add_u32 s22, s24, s22
	s_addc_u32 s24, 0, s23
	s_add_u32 s27, s28, s22
	s_cselect_b64 s[22:23], -1, 0
	s_cmp_lg_u64 s[22:23], 0
	s_addc_u32 s26, s26, s24
	s_ashr_i32 s22, s13, 31
	s_add_u32 s24, s12, s22
	s_mov_b32 s23, s22
	s_addc_u32 s25, s13, s22
	s_xor_b64 s[24:25], s[24:25], s[22:23]
	s_mul_i32 s29, s24, s26
	s_mul_hi_u32 s30, s24, s27
	s_mul_hi_u32 s28, s24, s26
	s_add_u32 s29, s30, s29
	s_addc_u32 s28, 0, s28
	s_mul_hi_u32 s31, s25, s27
	s_mul_i32 s27, s25, s27
	s_add_u32 s27, s29, s27
	s_mul_hi_u32 s30, s25, s26
	s_addc_u32 s27, s28, s31
	s_addc_u32 s28, s30, 0
	s_mul_i32 s26, s25, s26
	s_add_u32 s30, s27, s26
	s_addc_u32 s31, 0, s28
	s_mul_i32 s26, s20, s31
	s_mul_hi_u32 s27, s20, s30
	s_add_i32 s26, s27, s26
	s_mul_i32 s27, s21, s30
	s_add_i32 s33, s26, s27
	s_sub_i32 s28, s25, s33
	s_mul_i32 s26, s20, s30
	s_sub_u32 s24, s24, s26
	s_cselect_b64 s[26:27], -1, 0
	s_cmp_lg_u64 s[26:27], 0
	s_subb_u32 s34, s28, s21
	s_sub_u32 s35, s24, s20
	s_cselect_b64 s[28:29], -1, 0
	s_cmp_lg_u64 s[28:29], 0
	s_subb_u32 s28, s34, 0
	s_cmp_ge_u32 s28, s21
	s_cselect_b32 s29, -1, 0
	s_cmp_ge_u32 s35, s20
	s_cselect_b32 s34, -1, 0
	s_cmp_eq_u32 s28, s21
	s_cselect_b32 s28, s34, s29
	s_add_u32 s29, s30, 1
	s_addc_u32 s34, s31, 0
	s_add_u32 s35, s30, 2
	s_addc_u32 s36, s31, 0
	s_cmp_lg_u32 s28, 0
	s_cselect_b32 s28, s35, s29
	s_cselect_b32 s29, s36, s34
	s_cmp_lg_u64 s[26:27], 0
	s_subb_u32 s25, s25, s33
	s_cmp_ge_u32 s25, s21
	s_cselect_b32 s26, -1, 0
	s_cmp_ge_u32 s24, s20
	s_cselect_b32 s20, -1, 0
	s_cmp_eq_u32 s25, s21
	s_cselect_b32 s20, s20, s26
	s_cmp_lg_u32 s20, 0
	s_cselect_b32 s21, s29, s31
	s_cselect_b32 s20, s28, s30
	s_xor_b64 s[16:17], s[22:23], s[16:17]
	s_xor_b64 s[20:21], s[20:21], s[16:17]
	s_sub_u32 s20, s20, s16
	s_subb_u32 s21, s21, s17
	s_cbranch_execnz .LBB1_6
.LBB1_5:
	v_cvt_f32_u32_e32 v1, s8
	s_sub_i32 s16, 0, s8
	s_mov_b32 s21, 0
	v_rcp_iflag_f32_e32 v1, v1
	v_mul_f32_e32 v1, 0x4f7ffffe, v1
	v_cvt_u32_f32_e32 v1, v1
	v_readfirstlane_b32 s17, v1
	s_mul_i32 s16, s16, s17
	s_mul_hi_u32 s16, s17, s16
	s_add_i32 s17, s17, s16
	s_mul_hi_u32 s16, s12, s17
	s_mul_i32 s18, s16, s8
	s_sub_i32 s18, s12, s18
	s_add_i32 s17, s16, 1
	s_sub_i32 s19, s18, s8
	s_cmp_ge_u32 s18, s8
	s_cselect_b32 s16, s17, s16
	s_cselect_b32 s18, s19, s18
	s_add_i32 s17, s16, 1
	s_cmp_ge_u32 s18, s8
	s_cselect_b32 s20, s17, s16
.LBB1_6:
	s_load_dwordx4 s[16:19], s[4:5], 0x0
	s_load_dwordx2 s[22:23], s[4:5], 0x10
	s_load_dword s24, s[4:5], 0x54
	v_mov_b32_e32 v1, 0
	v_cmp_gt_i64_e32 vcc, s[10:11], v[0:1]
	v_mov_b32_e32 v5, 0
	v_mov_b32_e32 v6, 0
	s_and_saveexec_b64 s[4:5], vcc
	s_cbranch_execz .LBB1_14
; %bb.7:
	s_mul_i32 s15, s2, s15
	s_mul_hi_u32 s25, s2, s14
	s_add_i32 s15, s25, s15
	s_mul_i32 s25, s3, s14
	s_add_i32 s15, s15, s25
	s_mul_i32 s14, s2, s14
	s_lshl_b64 s[14:15], s[14:15], 3
	s_waitcnt lgkmcnt(0)
	s_add_u32 s18, s18, s14
	s_addc_u32 s19, s19, s15
	s_mul_i32 s14, s20, s11
	s_mul_hi_u32 s15, s20, s10
	s_add_i32 s14, s15, s14
	s_mul_i32 s15, s21, s10
	s_add_i32 s15, s14, s15
	s_mul_i32 s14, s20, s10
	s_lshl_b64 s[14:15], s[14:15], 3
	s_add_u32 s18, s18, s14
	s_addc_u32 s19, s19, s15
	s_lshl_b64 s[14:15], s[10:11], 3
	s_add_u32 s14, s18, s14
	s_mul_i32 s1, s2, s1
	s_mul_hi_u32 s25, s2, s0
	s_addc_u32 s15, s19, s15
	s_add_i32 s1, s25, s1
	s_mul_i32 s3, s3, s0
	s_add_i32 s1, s1, s3
	s_mul_i32 s0, s2, s0
	s_lshl_b64 s[0:1], s[0:1], 3
	s_add_u32 s2, s22, s0
	s_addc_u32 s3, s23, s1
	s_mul_i32 s0, s20, s9
	s_mul_hi_u32 s1, s20, s8
	s_add_i32 s0, s1, s0
	s_mul_i32 s1, s21, s8
	s_add_i32 s0, s0, s1
	s_mul_i32 s1, s20, s8
	s_sub_u32 s8, s12, s1
	s_subb_u32 s0, s13, s0
	s_mul_i32 s1, s8, s11
	s_mul_hi_u32 s9, s8, s10
	s_add_i32 s1, s9, s1
	s_mul_i32 s0, s0, s10
	s_add_i32 s1, s1, s0
	s_mul_i32 s0, s8, s10
	s_lshl_b64 s[0:1], s[0:1], 3
	v_lshlrev_b32_e32 v9, 3, v0
	s_add_u32 s10, s2, s0
	v_mov_b32_e32 v10, v1
	v_mov_b32_e32 v2, s19
	v_add_co_u32_e32 v1, vcc, s18, v9
	s_addc_u32 s0, s3, s1
	s_and_b32 s1, s24, 0xffff
	v_mov_b32_e32 v3, 0
	v_addc_co_u32_e32 v2, vcc, 0, v2, vcc
	s_lshl_b32 s11, s1, 3
	v_mov_b32_e32 v4, 0
	s_mov_b64 s[2:3], 0
	v_mov_b32_e32 v11, s0
	v_mov_b32_e32 v12, s19
	s_lshl_b32 s12, s1, 3
	s_branch .LBB1_10
.LBB1_8:                                ;   in Loop: Header=BB1_10 Depth=1
	s_or_b64 exec, exec, s[8:9]
	v_mov_b32_e32 v6, v4
	v_mov_b32_e32 v5, v3
.LBB1_9:                                ;   in Loop: Header=BB1_10 Depth=1
	s_or_b64 exec, exec, s[0:1]
	v_add_co_u32_e32 v1, vcc, s12, v1
	v_addc_co_u32_e32 v2, vcc, 0, v2, vcc
	v_cmp_le_u64_e32 vcc, s[14:15], v[1:2]
	v_add_co_u32_e64 v9, s[0:1], s11, v9
	v_mov_b32_e32 v3, v5
	v_addc_co_u32_e64 v10, s[0:1], 0, v10, s[0:1]
	s_or_b64 s[2:3], vcc, s[2:3]
	v_mov_b32_e32 v4, v6
	s_andn2_b64 exec, exec, s[2:3]
	s_cbranch_execz .LBB1_13
.LBB1_10:                               ; =>This Inner Loop Header: Depth=1
	v_add_co_u32_e32 v5, vcc, s10, v9
	v_addc_co_u32_e32 v6, vcc, v11, v10, vcc
	v_add_co_u32_e32 v7, vcc, s18, v9
	v_addc_co_u32_e32 v8, vcc, v12, v10, vcc
	global_load_dwordx2 v[13:14], v[7:8], off
	global_load_dwordx2 v[15:16], v[5:6], off
	s_waitcnt vmcnt(0)
	v_add_f64 v[7:8], v[13:14], -v[15:16]
	v_cmp_o_f64_e32 vcc, v[7:8], v[7:8]
	v_and_b32_e32 v6, 0x7fffffff, v8
	v_mov_b32_e32 v5, v7
	s_and_saveexec_b64 s[0:1], vcc
	s_cbranch_execz .LBB1_9
; %bb.11:                               ;   in Loop: Header=BB1_10 Depth=1
	v_cmp_neq_f64_e32 vcc, 0, v[7:8]
	s_and_saveexec_b64 s[8:9], vcc
	s_cbranch_execz .LBB1_8
; %bb.12:                               ;   in Loop: Header=BB1_10 Depth=1
	v_add_f64 v[3:4], v[3:4], 1.0
	s_branch .LBB1_8
.LBB1_13:
	s_or_b64 exec, exec, s[2:3]
.LBB1_14:
	s_or_b64 exec, exec, s[4:5]
	v_mbcnt_lo_u32_b32 v1, -1, 0
	v_mbcnt_hi_u32_b32 v10, -1, v1
	v_mov_b32_e32 v1, 0x80
	v_lshl_or_b32 v7, v10, 2, v1
	ds_bpermute_b32 v1, v7, v5
	ds_bpermute_b32 v2, v7, v6
	v_and_b32_e32 v12, 63, v10
	v_cmp_gt_u32_e32 vcc, 48, v12
	v_cndmask_b32_e64 v3, 0, 16, vcc
	v_cmp_gt_u32_e32 vcc, 56, v12
	s_waitcnt lgkmcnt(0)
	v_add_f64 v[1:2], v[5:6], v[1:2]
	v_add_lshl_u32 v5, v3, v10, 2
	v_and_b32_e32 v11, 63, v0
	s_barrier
	ds_bpermute_b32 v3, v5, v1
	ds_bpermute_b32 v4, v5, v2
	s_waitcnt lgkmcnt(0)
	v_add_f64 v[1:2], v[1:2], v[3:4]
	v_cndmask_b32_e64 v3, 0, 8, vcc
	v_add_lshl_u32 v6, v3, v10, 2
	v_cmp_gt_u32_e32 vcc, 60, v12
	ds_bpermute_b32 v3, v6, v1
	ds_bpermute_b32 v4, v6, v2
	s_waitcnt lgkmcnt(0)
	v_add_f64 v[1:2], v[1:2], v[3:4]
	v_cndmask_b32_e64 v3, 0, 4, vcc
	v_add_lshl_u32 v8, v3, v10, 2
	v_cmp_gt_u32_e32 vcc, 62, v12
	ds_bpermute_b32 v3, v8, v1
	ds_bpermute_b32 v4, v8, v2
	s_waitcnt lgkmcnt(0)
	v_add_f64 v[1:2], v[1:2], v[3:4]
	v_cndmask_b32_e64 v3, 0, 2, vcc
	v_add_lshl_u32 v9, v3, v10, 2
	v_cmp_ne_u32_e32 vcc, 63, v12
	ds_bpermute_b32 v3, v9, v1
	ds_bpermute_b32 v4, v9, v2
	s_waitcnt lgkmcnt(0)
	v_add_f64 v[1:2], v[1:2], v[3:4]
	v_addc_co_u32_e32 v3, vcc, 0, v10, vcc
	v_lshlrev_b32_e32 v10, 2, v3
	v_cmp_eq_u32_e32 vcc, 0, v11
	ds_bpermute_b32 v3, v10, v1
	ds_bpermute_b32 v4, v10, v2
	s_and_saveexec_b64 s[0:1], vcc
	s_cbranch_execz .LBB1_16
; %bb.15:
	s_waitcnt lgkmcnt(0)
	v_add_f64 v[1:2], v[1:2], v[3:4]
	v_lshrrev_b32_e32 v3, 3, v0
	ds_write_b64 v3, v[1:2]
.LBB1_16:
	s_or_b64 exec, exec, s[0:1]
	s_and_b32 s0, 0xffff, s24
	s_lshr_b32 s0, s0, 6
	v_mov_b32_e32 v1, 0
	v_mov_b32_e32 v2, 0
	v_cmp_gt_u32_e32 vcc, s0, v0
	s_waitcnt lgkmcnt(0)
	s_barrier
	s_and_saveexec_b64 s[0:1], vcc
	s_cbranch_execnz .LBB1_20
; %bb.17:
	s_or_b64 exec, exec, s[0:1]
	v_cmp_gt_u32_e32 vcc, 64, v0
	s_and_saveexec_b64 s[0:1], vcc
	s_cbranch_execnz .LBB1_21
.LBB1_18:
	s_or_b64 exec, exec, s[0:1]
	v_cmp_eq_u32_e32 vcc, 0, v0
	s_and_saveexec_b64 s[0:1], vcc
	s_cbranch_execnz .LBB1_22
.LBB1_19:
	s_endpgm
.LBB1_20:
	v_lshlrev_b32_e32 v1, 3, v11
	ds_read_b64 v[1:2], v1
	s_or_b64 exec, exec, s[0:1]
	v_cmp_gt_u32_e32 vcc, 64, v0
	s_and_saveexec_b64 s[0:1], vcc
	s_cbranch_execz .LBB1_18
.LBB1_21:
	s_waitcnt lgkmcnt(0)
	ds_bpermute_b32 v3, v7, v1
	ds_bpermute_b32 v4, v7, v2
	s_waitcnt lgkmcnt(0)
	v_add_f64 v[1:2], v[1:2], v[3:4]
	ds_bpermute_b32 v3, v5, v1
	ds_bpermute_b32 v4, v5, v2
	s_waitcnt lgkmcnt(0)
	v_add_f64 v[1:2], v[1:2], v[3:4]
	;; [unrolled: 4-line block ×6, first 2 shown]
	s_or_b64 exec, exec, s[0:1]
	v_cmp_eq_u32_e32 vcc, 0, v0
	s_and_saveexec_b64 s[0:1], vcc
	s_cbranch_execz .LBB1_19
.LBB1_22:
	s_lshl_b64 s[0:1], s[6:7], 3
	s_add_u32 s0, s16, s0
	s_addc_u32 s1, s17, s1
	v_mov_b32_e32 v0, 0
	s_waitcnt lgkmcnt(0)
	global_store_dwordx2 v0, v[1:2], s[0:1]
	s_endpgm
.LBB1_23:
                                        ; implicit-def: $sgpr2_sgpr3
	s_branch .LBB1_2
.LBB1_24:
                                        ; implicit-def: $sgpr20_sgpr21
	s_branch .LBB1_5
	.section	.rodata,"a",@progbits
	.p2align	6, 0x0
	.amdhsa_kernel _ZN2at6native12_GLOBAL__N_122cdist_kernel_cuda_implIdNS1_5distsIdE4zeroEEEvPT_PKS6_S9_S6_lllll
		.amdhsa_group_segment_fixed_size 2048
		.amdhsa_private_segment_fixed_size 0
		.amdhsa_kernarg_size 328
		.amdhsa_user_sgpr_count 6
		.amdhsa_user_sgpr_private_segment_buffer 1
		.amdhsa_user_sgpr_dispatch_ptr 0
		.amdhsa_user_sgpr_queue_ptr 0
		.amdhsa_user_sgpr_kernarg_segment_ptr 1
		.amdhsa_user_sgpr_dispatch_id 0
		.amdhsa_user_sgpr_flat_scratch_init 0
		.amdhsa_user_sgpr_private_segment_size 0
		.amdhsa_uses_dynamic_stack 0
		.amdhsa_system_sgpr_private_segment_wavefront_offset 0
		.amdhsa_system_sgpr_workgroup_id_x 1
		.amdhsa_system_sgpr_workgroup_id_y 0
		.amdhsa_system_sgpr_workgroup_id_z 0
		.amdhsa_system_sgpr_workgroup_info 0
		.amdhsa_system_vgpr_workitem_id 0
		.amdhsa_next_free_vgpr 29
		.amdhsa_next_free_sgpr 61
		.amdhsa_reserve_vcc 1
		.amdhsa_reserve_flat_scratch 0
		.amdhsa_float_round_mode_32 0
		.amdhsa_float_round_mode_16_64 0
		.amdhsa_float_denorm_mode_32 3
		.amdhsa_float_denorm_mode_16_64 3
		.amdhsa_dx10_clamp 1
		.amdhsa_ieee_mode 1
		.amdhsa_fp16_overflow 0
		.amdhsa_exception_fp_ieee_invalid_op 0
		.amdhsa_exception_fp_denorm_src 0
		.amdhsa_exception_fp_ieee_div_zero 0
		.amdhsa_exception_fp_ieee_overflow 0
		.amdhsa_exception_fp_ieee_underflow 0
		.amdhsa_exception_fp_ieee_inexact 0
		.amdhsa_exception_int_div_zero 0
	.end_amdhsa_kernel
	.section	.text._ZN2at6native12_GLOBAL__N_122cdist_kernel_cuda_implIdNS1_5distsIdE4zeroEEEvPT_PKS6_S9_S6_lllll,"axG",@progbits,_ZN2at6native12_GLOBAL__N_122cdist_kernel_cuda_implIdNS1_5distsIdE4zeroEEEvPT_PKS6_S9_S6_lllll,comdat
.Lfunc_end1:
	.size	_ZN2at6native12_GLOBAL__N_122cdist_kernel_cuda_implIdNS1_5distsIdE4zeroEEEvPT_PKS6_S9_S6_lllll, .Lfunc_end1-_ZN2at6native12_GLOBAL__N_122cdist_kernel_cuda_implIdNS1_5distsIdE4zeroEEEvPT_PKS6_S9_S6_lllll
                                        ; -- End function
	.set _ZN2at6native12_GLOBAL__N_122cdist_kernel_cuda_implIdNS1_5distsIdE4zeroEEEvPT_PKS6_S9_S6_lllll.num_vgpr, 17
	.set _ZN2at6native12_GLOBAL__N_122cdist_kernel_cuda_implIdNS1_5distsIdE4zeroEEEvPT_PKS6_S9_S6_lllll.num_agpr, 0
	.set _ZN2at6native12_GLOBAL__N_122cdist_kernel_cuda_implIdNS1_5distsIdE4zeroEEEvPT_PKS6_S9_S6_lllll.numbered_sgpr, 37
	.set _ZN2at6native12_GLOBAL__N_122cdist_kernel_cuda_implIdNS1_5distsIdE4zeroEEEvPT_PKS6_S9_S6_lllll.num_named_barrier, 0
	.set _ZN2at6native12_GLOBAL__N_122cdist_kernel_cuda_implIdNS1_5distsIdE4zeroEEEvPT_PKS6_S9_S6_lllll.private_seg_size, 0
	.set _ZN2at6native12_GLOBAL__N_122cdist_kernel_cuda_implIdNS1_5distsIdE4zeroEEEvPT_PKS6_S9_S6_lllll.uses_vcc, 1
	.set _ZN2at6native12_GLOBAL__N_122cdist_kernel_cuda_implIdNS1_5distsIdE4zeroEEEvPT_PKS6_S9_S6_lllll.uses_flat_scratch, 0
	.set _ZN2at6native12_GLOBAL__N_122cdist_kernel_cuda_implIdNS1_5distsIdE4zeroEEEvPT_PKS6_S9_S6_lllll.has_dyn_sized_stack, 0
	.set _ZN2at6native12_GLOBAL__N_122cdist_kernel_cuda_implIdNS1_5distsIdE4zeroEEEvPT_PKS6_S9_S6_lllll.has_recursion, 0
	.set _ZN2at6native12_GLOBAL__N_122cdist_kernel_cuda_implIdNS1_5distsIdE4zeroEEEvPT_PKS6_S9_S6_lllll.has_indirect_call, 0
	.section	.AMDGPU.csdata,"",@progbits
; Kernel info:
; codeLenInByte = 2472
; TotalNumSgprs: 41
; NumVgprs: 17
; ScratchSize: 0
; MemoryBound: 0
; FloatMode: 240
; IeeeMode: 1
; LDSByteSize: 2048 bytes/workgroup (compile time only)
; SGPRBlocks: 8
; VGPRBlocks: 7
; NumSGPRsForWavesPerEU: 65
; NumVGPRsForWavesPerEU: 29
; Occupancy: 8
; WaveLimiterHint : 0
; COMPUTE_PGM_RSRC2:SCRATCH_EN: 0
; COMPUTE_PGM_RSRC2:USER_SGPR: 6
; COMPUTE_PGM_RSRC2:TRAP_HANDLER: 0
; COMPUTE_PGM_RSRC2:TGID_X_EN: 1
; COMPUTE_PGM_RSRC2:TGID_Y_EN: 0
; COMPUTE_PGM_RSRC2:TGID_Z_EN: 0
; COMPUTE_PGM_RSRC2:TIDIG_COMP_CNT: 0
	.section	.text._ZN2at6native12_GLOBAL__N_122cdist_kernel_cuda_implIdNS1_5distsIdE3oneEEEvPT_PKS6_S9_S6_lllll,"axG",@progbits,_ZN2at6native12_GLOBAL__N_122cdist_kernel_cuda_implIdNS1_5distsIdE3oneEEEvPT_PKS6_S9_S6_lllll,comdat
	.globl	_ZN2at6native12_GLOBAL__N_122cdist_kernel_cuda_implIdNS1_5distsIdE3oneEEEvPT_PKS6_S9_S6_lllll ; -- Begin function _ZN2at6native12_GLOBAL__N_122cdist_kernel_cuda_implIdNS1_5distsIdE3oneEEEvPT_PKS6_S9_S6_lllll
	.p2align	8
	.type	_ZN2at6native12_GLOBAL__N_122cdist_kernel_cuda_implIdNS1_5distsIdE3oneEEEvPT_PKS6_S9_S6_lllll,@function
_ZN2at6native12_GLOBAL__N_122cdist_kernel_cuda_implIdNS1_5distsIdE3oneEEEvPT_PKS6_S9_S6_lllll: ; @_ZN2at6native12_GLOBAL__N_122cdist_kernel_cuda_implIdNS1_5distsIdE3oneEEEvPT_PKS6_S9_S6_lllll
; %bb.0:
	s_load_dwordx8 s[8:15], s[4:5], 0x20
	s_load_dwordx2 s[0:1], s[4:5], 0x40
	s_mov_b32 s7, 0
	s_mov_b32 s2, s7
	s_waitcnt lgkmcnt(0)
	s_mov_b32 s3, s13
	s_cmp_lg_u64 s[2:3], 0
	s_cbranch_scc0 .LBB2_19
; %bb.1:
	s_ashr_i32 s2, s13, 31
	s_add_u32 s16, s12, s2
	s_mov_b32 s3, s2
	s_addc_u32 s17, s13, s2
	s_xor_b64 s[18:19], s[16:17], s[2:3]
	v_cvt_f32_u32_e32 v1, s18
	v_cvt_f32_u32_e32 v2, s19
	s_sub_u32 s22, 0, s18
	s_subb_u32 s23, 0, s19
	v_madmk_f32 v1, v2, 0x4f800000, v1
	v_rcp_f32_e32 v1, v1
	v_mul_f32_e32 v1, 0x5f7ffffc, v1
	v_mul_f32_e32 v2, 0x2f800000, v1
	v_trunc_f32_e32 v2, v2
	v_madmk_f32 v1, v2, 0xcf800000, v1
	v_cvt_u32_f32_e32 v2, v2
	v_cvt_u32_f32_e32 v1, v1
	v_readfirstlane_b32 s24, v2
	v_readfirstlane_b32 s20, v1
	s_mul_i32 s21, s22, s24
	s_mul_hi_u32 s26, s22, s20
	s_mul_i32 s25, s23, s20
	s_add_i32 s21, s26, s21
	s_add_i32 s21, s21, s25
	s_mul_i32 s27, s22, s20
	s_mul_i32 s26, s20, s21
	s_mul_hi_u32 s28, s20, s27
	s_mul_hi_u32 s25, s20, s21
	s_add_u32 s26, s28, s26
	s_addc_u32 s25, 0, s25
	s_mul_hi_u32 s29, s24, s27
	s_mul_i32 s27, s24, s27
	s_add_u32 s26, s26, s27
	s_mul_hi_u32 s28, s24, s21
	s_addc_u32 s25, s25, s29
	s_addc_u32 s26, s28, 0
	s_mul_i32 s21, s24, s21
	s_add_u32 s21, s25, s21
	s_addc_u32 s25, 0, s26
	s_add_u32 s26, s20, s21
	s_cselect_b64 s[20:21], -1, 0
	s_cmp_lg_u64 s[20:21], 0
	s_addc_u32 s24, s24, s25
	s_mul_i32 s20, s22, s24
	s_mul_hi_u32 s21, s22, s26
	s_add_i32 s20, s21, s20
	s_mul_i32 s23, s23, s26
	s_add_i32 s20, s20, s23
	s_mul_i32 s22, s22, s26
	s_mul_hi_u32 s23, s24, s22
	s_mul_i32 s25, s24, s22
	s_mul_i32 s28, s26, s20
	s_mul_hi_u32 s22, s26, s22
	s_mul_hi_u32 s27, s26, s20
	s_add_u32 s22, s22, s28
	s_addc_u32 s27, 0, s27
	s_add_u32 s22, s22, s25
	s_mul_hi_u32 s21, s24, s20
	s_addc_u32 s22, s27, s23
	s_addc_u32 s21, s21, 0
	s_mul_i32 s20, s24, s20
	s_add_u32 s20, s22, s20
	s_addc_u32 s22, 0, s21
	s_add_u32 s23, s26, s20
	s_cselect_b64 s[20:21], -1, 0
	s_cmp_lg_u64 s[20:21], 0
	s_addc_u32 s22, s24, s22
	s_add_u32 s20, s6, 0
	s_addc_u32 s21, 0, 0
	s_xor_b64 s[20:21], s[20:21], 0
	s_mul_i32 s25, s20, s22
	s_mul_hi_u32 s26, s20, s23
	s_mul_hi_u32 s24, s20, s22
	s_add_u32 s25, s26, s25
	s_addc_u32 s24, 0, s24
	s_mul_hi_u32 s27, s21, s23
	s_mul_i32 s23, s21, s23
	s_add_u32 s23, s25, s23
	s_mul_hi_u32 s26, s21, s22
	s_addc_u32 s23, s24, s27
	s_addc_u32 s24, s26, 0
	s_mul_i32 s22, s21, s22
	s_add_u32 s26, s23, s22
	s_addc_u32 s27, 0, s24
	s_mul_i32 s22, s18, s27
	s_mul_hi_u32 s23, s18, s26
	s_add_i32 s22, s23, s22
	s_mul_i32 s23, s19, s26
	s_add_i32 s28, s22, s23
	s_sub_i32 s24, s21, s28
	s_mul_i32 s22, s18, s26
	s_sub_u32 s20, s20, s22
	s_cselect_b64 s[22:23], -1, 0
	s_cmp_lg_u64 s[22:23], 0
	s_subb_u32 s29, s24, s19
	s_sub_u32 s30, s20, s18
	s_cselect_b64 s[24:25], -1, 0
	s_cmp_lg_u64 s[24:25], 0
	s_subb_u32 s24, s29, 0
	s_cmp_ge_u32 s24, s19
	s_cselect_b32 s25, -1, 0
	s_cmp_ge_u32 s30, s18
	s_cselect_b32 s29, -1, 0
	s_cmp_eq_u32 s24, s19
	s_cselect_b32 s24, s29, s25
	s_add_u32 s25, s26, 1
	s_addc_u32 s29, s27, 0
	s_add_u32 s30, s26, 2
	s_addc_u32 s31, s27, 0
	s_cmp_lg_u32 s24, 0
	s_cselect_b32 s24, s30, s25
	s_cselect_b32 s25, s31, s29
	s_cmp_lg_u64 s[22:23], 0
	s_subb_u32 s21, s21, s28
	s_cmp_ge_u32 s21, s19
	s_cselect_b32 s22, -1, 0
	s_cmp_ge_u32 s20, s18
	s_cselect_b32 s18, -1, 0
	s_cmp_eq_u32 s21, s19
	s_cselect_b32 s18, s18, s22
	s_cmp_lg_u32 s18, 0
	s_cselect_b32 s19, s25, s27
	s_cselect_b32 s18, s24, s26
	s_xor_b64 s[2:3], 0, s[2:3]
	s_xor_b64 s[18:19], s[18:19], s[2:3]
	s_sub_u32 s2, s18, s2
	s_subb_u32 s3, s19, s3
	s_cbranch_execnz .LBB2_3
.LBB2_2:
	v_cvt_f32_u32_e32 v1, s12
	s_sub_i32 s2, 0, s12
	s_mov_b32 s3, 0
	v_rcp_iflag_f32_e32 v1, v1
	v_mul_f32_e32 v1, 0x4f7ffffe, v1
	v_cvt_u32_f32_e32 v1, v1
	v_readfirstlane_b32 s16, v1
	s_mul_i32 s2, s2, s16
	s_mul_hi_u32 s2, s16, s2
	s_add_i32 s16, s16, s2
	s_mul_hi_u32 s2, s6, s16
	s_mul_i32 s17, s2, s12
	s_sub_i32 s17, s6, s17
	s_add_i32 s16, s2, 1
	s_sub_i32 s18, s17, s12
	s_cmp_ge_u32 s17, s12
	s_cselect_b32 s2, s16, s2
	s_cselect_b32 s17, s18, s17
	s_add_i32 s16, s2, 1
	s_cmp_ge_u32 s17, s12
	s_cselect_b32 s2, s16, s2
.LBB2_3:
	s_mul_i32 s13, s2, s13
	s_mul_hi_u32 s16, s2, s12
	s_add_i32 s13, s16, s13
	s_mul_i32 s16, s3, s12
	s_add_i32 s13, s13, s16
	s_mul_i32 s12, s2, s12
	s_sub_u32 s12, s6, s12
	s_subb_u32 s13, 0, s13
	s_or_b64 s[16:17], s[12:13], s[8:9]
	s_mov_b32 s16, 0
	s_cmp_lg_u64 s[16:17], 0
	s_cbranch_scc0 .LBB2_20
; %bb.4:
	s_ashr_i32 s16, s9, 31
	s_add_u32 s18, s8, s16
	s_mov_b32 s17, s16
	s_addc_u32 s19, s9, s16
	s_xor_b64 s[20:21], s[18:19], s[16:17]
	v_cvt_f32_u32_e32 v1, s20
	v_cvt_f32_u32_e32 v2, s21
	s_sub_u32 s24, 0, s20
	s_subb_u32 s25, 0, s21
	v_madmk_f32 v1, v2, 0x4f800000, v1
	v_rcp_f32_e32 v1, v1
	v_mul_f32_e32 v1, 0x5f7ffffc, v1
	v_mul_f32_e32 v2, 0x2f800000, v1
	v_trunc_f32_e32 v2, v2
	v_madmk_f32 v1, v2, 0xcf800000, v1
	v_cvt_u32_f32_e32 v2, v2
	v_cvt_u32_f32_e32 v1, v1
	v_readfirstlane_b32 s26, v2
	v_readfirstlane_b32 s22, v1
	s_mul_i32 s23, s24, s26
	s_mul_hi_u32 s28, s24, s22
	s_mul_i32 s27, s25, s22
	s_add_i32 s23, s28, s23
	s_add_i32 s23, s23, s27
	s_mul_i32 s29, s24, s22
	s_mul_i32 s28, s22, s23
	s_mul_hi_u32 s30, s22, s29
	s_mul_hi_u32 s27, s22, s23
	s_add_u32 s28, s30, s28
	s_addc_u32 s27, 0, s27
	s_mul_hi_u32 s31, s26, s29
	s_mul_i32 s29, s26, s29
	s_add_u32 s28, s28, s29
	s_mul_hi_u32 s30, s26, s23
	s_addc_u32 s27, s27, s31
	s_addc_u32 s28, s30, 0
	s_mul_i32 s23, s26, s23
	s_add_u32 s23, s27, s23
	s_addc_u32 s27, 0, s28
	s_add_u32 s28, s22, s23
	s_cselect_b64 s[22:23], -1, 0
	s_cmp_lg_u64 s[22:23], 0
	s_addc_u32 s26, s26, s27
	s_mul_i32 s22, s24, s26
	s_mul_hi_u32 s23, s24, s28
	s_add_i32 s22, s23, s22
	s_mul_i32 s25, s25, s28
	s_add_i32 s22, s22, s25
	s_mul_i32 s24, s24, s28
	s_mul_hi_u32 s25, s26, s24
	s_mul_i32 s27, s26, s24
	s_mul_i32 s30, s28, s22
	s_mul_hi_u32 s24, s28, s24
	s_mul_hi_u32 s29, s28, s22
	s_add_u32 s24, s24, s30
	s_addc_u32 s29, 0, s29
	s_add_u32 s24, s24, s27
	s_mul_hi_u32 s23, s26, s22
	s_addc_u32 s24, s29, s25
	s_addc_u32 s23, s23, 0
	s_mul_i32 s22, s26, s22
	s_add_u32 s22, s24, s22
	s_addc_u32 s24, 0, s23
	s_add_u32 s27, s28, s22
	s_cselect_b64 s[22:23], -1, 0
	s_cmp_lg_u64 s[22:23], 0
	s_addc_u32 s26, s26, s24
	s_ashr_i32 s22, s13, 31
	s_add_u32 s24, s12, s22
	s_mov_b32 s23, s22
	s_addc_u32 s25, s13, s22
	s_xor_b64 s[24:25], s[24:25], s[22:23]
	s_mul_i32 s29, s24, s26
	s_mul_hi_u32 s30, s24, s27
	s_mul_hi_u32 s28, s24, s26
	s_add_u32 s29, s30, s29
	s_addc_u32 s28, 0, s28
	s_mul_hi_u32 s31, s25, s27
	s_mul_i32 s27, s25, s27
	s_add_u32 s27, s29, s27
	s_mul_hi_u32 s30, s25, s26
	s_addc_u32 s27, s28, s31
	s_addc_u32 s28, s30, 0
	s_mul_i32 s26, s25, s26
	s_add_u32 s30, s27, s26
	s_addc_u32 s31, 0, s28
	s_mul_i32 s26, s20, s31
	s_mul_hi_u32 s27, s20, s30
	s_add_i32 s26, s27, s26
	s_mul_i32 s27, s21, s30
	s_add_i32 s33, s26, s27
	s_sub_i32 s28, s25, s33
	s_mul_i32 s26, s20, s30
	s_sub_u32 s24, s24, s26
	s_cselect_b64 s[26:27], -1, 0
	s_cmp_lg_u64 s[26:27], 0
	s_subb_u32 s34, s28, s21
	s_sub_u32 s35, s24, s20
	s_cselect_b64 s[28:29], -1, 0
	s_cmp_lg_u64 s[28:29], 0
	s_subb_u32 s28, s34, 0
	s_cmp_ge_u32 s28, s21
	s_cselect_b32 s29, -1, 0
	s_cmp_ge_u32 s35, s20
	s_cselect_b32 s34, -1, 0
	s_cmp_eq_u32 s28, s21
	s_cselect_b32 s28, s34, s29
	s_add_u32 s29, s30, 1
	s_addc_u32 s34, s31, 0
	s_add_u32 s35, s30, 2
	s_addc_u32 s36, s31, 0
	s_cmp_lg_u32 s28, 0
	s_cselect_b32 s28, s35, s29
	s_cselect_b32 s29, s36, s34
	s_cmp_lg_u64 s[26:27], 0
	s_subb_u32 s25, s25, s33
	s_cmp_ge_u32 s25, s21
	s_cselect_b32 s26, -1, 0
	s_cmp_ge_u32 s24, s20
	s_cselect_b32 s20, -1, 0
	s_cmp_eq_u32 s25, s21
	s_cselect_b32 s20, s20, s26
	s_cmp_lg_u32 s20, 0
	s_cselect_b32 s21, s29, s31
	s_cselect_b32 s20, s28, s30
	s_xor_b64 s[16:17], s[22:23], s[16:17]
	s_xor_b64 s[20:21], s[20:21], s[16:17]
	s_sub_u32 s20, s20, s16
	s_subb_u32 s21, s21, s17
	s_cbranch_execnz .LBB2_6
.LBB2_5:
	v_cvt_f32_u32_e32 v1, s8
	s_sub_i32 s16, 0, s8
	s_mov_b32 s21, 0
	v_rcp_iflag_f32_e32 v1, v1
	v_mul_f32_e32 v1, 0x4f7ffffe, v1
	v_cvt_u32_f32_e32 v1, v1
	v_readfirstlane_b32 s17, v1
	s_mul_i32 s16, s16, s17
	s_mul_hi_u32 s16, s17, s16
	s_add_i32 s17, s17, s16
	s_mul_hi_u32 s16, s12, s17
	s_mul_i32 s18, s16, s8
	s_sub_i32 s18, s12, s18
	s_add_i32 s17, s16, 1
	s_sub_i32 s19, s18, s8
	s_cmp_ge_u32 s18, s8
	s_cselect_b32 s16, s17, s16
	s_cselect_b32 s18, s19, s18
	s_add_i32 s17, s16, 1
	s_cmp_ge_u32 s18, s8
	s_cselect_b32 s20, s17, s16
.LBB2_6:
	s_load_dwordx4 s[16:19], s[4:5], 0x0
	s_load_dwordx2 s[22:23], s[4:5], 0x10
	s_load_dword s24, s[4:5], 0x54
	v_mov_b32_e32 v1, 0
	v_cmp_gt_i64_e32 vcc, s[10:11], v[0:1]
	v_mov_b32_e32 v3, 0
	v_mov_b32_e32 v4, 0
	s_and_saveexec_b64 s[4:5], vcc
	s_cbranch_execz .LBB2_10
; %bb.7:
	s_mul_i32 s15, s2, s15
	s_mul_hi_u32 s25, s2, s14
	s_add_i32 s15, s25, s15
	s_mul_i32 s25, s3, s14
	s_add_i32 s15, s15, s25
	s_mul_i32 s14, s2, s14
	s_lshl_b64 s[14:15], s[14:15], 3
	s_waitcnt lgkmcnt(0)
	s_add_u32 s18, s18, s14
	s_addc_u32 s19, s19, s15
	s_mul_i32 s14, s20, s11
	s_mul_hi_u32 s15, s20, s10
	s_add_i32 s14, s15, s14
	s_mul_i32 s15, s21, s10
	s_add_i32 s15, s14, s15
	s_mul_i32 s14, s20, s10
	s_lshl_b64 s[14:15], s[14:15], 3
	s_add_u32 s18, s18, s14
	s_addc_u32 s19, s19, s15
	s_lshl_b64 s[14:15], s[10:11], 3
	s_add_u32 s14, s18, s14
	s_mul_i32 s1, s2, s1
	s_mul_hi_u32 s25, s2, s0
	s_addc_u32 s15, s19, s15
	s_add_i32 s1, s25, s1
	s_mul_i32 s3, s3, s0
	s_add_i32 s1, s1, s3
	s_mul_i32 s0, s2, s0
	s_lshl_b64 s[0:1], s[0:1], 3
	s_add_u32 s2, s22, s0
	s_addc_u32 s3, s23, s1
	s_mul_i32 s0, s20, s9
	s_mul_hi_u32 s1, s20, s8
	s_add_i32 s0, s1, s0
	s_mul_i32 s1, s21, s8
	s_add_i32 s0, s0, s1
	s_mul_i32 s1, s20, s8
	s_sub_u32 s8, s12, s1
	s_subb_u32 s0, s13, s0
	s_mul_i32 s1, s8, s11
	s_mul_hi_u32 s9, s8, s10
	s_add_i32 s1, s9, s1
	s_mul_i32 s0, s0, s10
	s_add_i32 s1, s1, s0
	s_mul_i32 s0, s8, s10
	s_lshl_b64 s[0:1], s[0:1], 3
	v_lshlrev_b32_e32 v5, 3, v0
	s_add_u32 s8, s2, s0
	v_mov_b32_e32 v6, v1
	v_mov_b32_e32 v2, s19
	v_add_co_u32_e32 v1, vcc, s18, v5
	s_addc_u32 s0, s3, s1
	s_and_b32 s1, s24, 0xffff
	v_mov_b32_e32 v3, 0
	v_addc_co_u32_e32 v2, vcc, 0, v2, vcc
	s_lshl_b32 s9, s1, 3
	v_mov_b32_e32 v4, 0
	s_mov_b64 s[2:3], 0
	v_mov_b32_e32 v7, s0
	v_mov_b32_e32 v8, s19
	s_lshl_b32 s10, s1, 3
.LBB2_8:                                ; =>This Inner Loop Header: Depth=1
	v_add_co_u32_e32 v9, vcc, s8, v5
	v_addc_co_u32_e32 v10, vcc, v7, v6, vcc
	v_add_co_u32_e32 v11, vcc, s18, v5
	v_addc_co_u32_e32 v12, vcc, v8, v6, vcc
	global_load_dwordx2 v[13:14], v[11:12], off
	global_load_dwordx2 v[15:16], v[9:10], off
	v_add_co_u32_e32 v1, vcc, s10, v1
	v_addc_co_u32_e32 v2, vcc, 0, v2, vcc
	v_cmp_le_u64_e64 s[0:1], s[14:15], v[1:2]
	v_add_co_u32_e32 v5, vcc, s9, v5
	s_or_b64 s[2:3], s[0:1], s[2:3]
	v_addc_co_u32_e32 v6, vcc, 0, v6, vcc
	s_waitcnt vmcnt(0)
	v_add_f64 v[9:10], v[13:14], -v[15:16]
	v_add_f64 v[3:4], v[3:4], |v[9:10]|
	s_andn2_b64 exec, exec, s[2:3]
	s_cbranch_execnz .LBB2_8
; %bb.9:
	s_or_b64 exec, exec, s[2:3]
.LBB2_10:
	s_or_b64 exec, exec, s[4:5]
	v_mbcnt_lo_u32_b32 v1, -1, 0
	v_mbcnt_hi_u32_b32 v10, -1, v1
	v_mov_b32_e32 v1, 0x80
	v_lshl_or_b32 v5, v10, 2, v1
	ds_bpermute_b32 v1, v5, v3
	ds_bpermute_b32 v2, v5, v4
	v_and_b32_e32 v12, 63, v10
	v_cmp_gt_u32_e32 vcc, 48, v12
	v_and_b32_e32 v11, 63, v0
	s_waitcnt lgkmcnt(0)
	v_add_f64 v[1:2], v[3:4], v[1:2]
	v_cndmask_b32_e64 v3, 0, 16, vcc
	v_add_lshl_u32 v6, v3, v10, 2
	v_cmp_gt_u32_e32 vcc, 56, v12
	s_barrier
	ds_bpermute_b32 v3, v6, v1
	ds_bpermute_b32 v4, v6, v2
	s_waitcnt lgkmcnt(0)
	v_add_f64 v[1:2], v[1:2], v[3:4]
	v_cndmask_b32_e64 v3, 0, 8, vcc
	v_add_lshl_u32 v7, v3, v10, 2
	v_cmp_gt_u32_e32 vcc, 60, v12
	ds_bpermute_b32 v3, v7, v1
	ds_bpermute_b32 v4, v7, v2
	s_waitcnt lgkmcnt(0)
	v_add_f64 v[1:2], v[1:2], v[3:4]
	v_cndmask_b32_e64 v3, 0, 4, vcc
	v_add_lshl_u32 v8, v3, v10, 2
	v_cmp_gt_u32_e32 vcc, 62, v12
	ds_bpermute_b32 v3, v8, v1
	ds_bpermute_b32 v4, v8, v2
	s_waitcnt lgkmcnt(0)
	v_add_f64 v[1:2], v[1:2], v[3:4]
	v_cndmask_b32_e64 v3, 0, 2, vcc
	v_add_lshl_u32 v9, v3, v10, 2
	v_cmp_ne_u32_e32 vcc, 63, v12
	ds_bpermute_b32 v3, v9, v1
	ds_bpermute_b32 v4, v9, v2
	s_waitcnt lgkmcnt(0)
	v_add_f64 v[1:2], v[1:2], v[3:4]
	v_addc_co_u32_e32 v3, vcc, 0, v10, vcc
	v_lshlrev_b32_e32 v10, 2, v3
	v_cmp_eq_u32_e32 vcc, 0, v11
	ds_bpermute_b32 v3, v10, v1
	ds_bpermute_b32 v4, v10, v2
	s_and_saveexec_b64 s[0:1], vcc
	s_cbranch_execz .LBB2_12
; %bb.11:
	s_waitcnt lgkmcnt(0)
	v_add_f64 v[1:2], v[1:2], v[3:4]
	v_lshrrev_b32_e32 v3, 3, v0
	ds_write_b64 v3, v[1:2]
.LBB2_12:
	s_or_b64 exec, exec, s[0:1]
	s_and_b32 s0, 0xffff, s24
	s_lshr_b32 s0, s0, 6
	v_mov_b32_e32 v1, 0
	v_mov_b32_e32 v2, 0
	v_cmp_gt_u32_e32 vcc, s0, v0
	s_waitcnt lgkmcnt(0)
	s_barrier
	s_and_saveexec_b64 s[0:1], vcc
	s_cbranch_execnz .LBB2_16
; %bb.13:
	s_or_b64 exec, exec, s[0:1]
	v_cmp_gt_u32_e32 vcc, 64, v0
	s_and_saveexec_b64 s[0:1], vcc
	s_cbranch_execnz .LBB2_17
.LBB2_14:
	s_or_b64 exec, exec, s[0:1]
	v_cmp_eq_u32_e32 vcc, 0, v0
	s_and_saveexec_b64 s[0:1], vcc
	s_cbranch_execnz .LBB2_18
.LBB2_15:
	s_endpgm
.LBB2_16:
	v_lshlrev_b32_e32 v1, 3, v11
	ds_read_b64 v[1:2], v1
	s_or_b64 exec, exec, s[0:1]
	v_cmp_gt_u32_e32 vcc, 64, v0
	s_and_saveexec_b64 s[0:1], vcc
	s_cbranch_execz .LBB2_14
.LBB2_17:
	s_waitcnt lgkmcnt(0)
	ds_bpermute_b32 v3, v5, v1
	ds_bpermute_b32 v4, v5, v2
	s_waitcnt lgkmcnt(0)
	v_add_f64 v[1:2], v[1:2], v[3:4]
	ds_bpermute_b32 v3, v6, v1
	ds_bpermute_b32 v4, v6, v2
	s_waitcnt lgkmcnt(0)
	v_add_f64 v[1:2], v[1:2], v[3:4]
	;; [unrolled: 4-line block ×6, first 2 shown]
	s_or_b64 exec, exec, s[0:1]
	v_cmp_eq_u32_e32 vcc, 0, v0
	s_and_saveexec_b64 s[0:1], vcc
	s_cbranch_execz .LBB2_15
.LBB2_18:
	s_lshl_b64 s[0:1], s[6:7], 3
	s_add_u32 s0, s16, s0
	s_addc_u32 s1, s17, s1
	v_mov_b32_e32 v0, 0
	s_waitcnt lgkmcnt(0)
	global_store_dwordx2 v0, v[1:2], s[0:1]
	s_endpgm
.LBB2_19:
                                        ; implicit-def: $sgpr2_sgpr3
	s_branch .LBB2_2
.LBB2_20:
                                        ; implicit-def: $sgpr20_sgpr21
	s_branch .LBB2_5
	.section	.rodata,"a",@progbits
	.p2align	6, 0x0
	.amdhsa_kernel _ZN2at6native12_GLOBAL__N_122cdist_kernel_cuda_implIdNS1_5distsIdE3oneEEEvPT_PKS6_S9_S6_lllll
		.amdhsa_group_segment_fixed_size 2048
		.amdhsa_private_segment_fixed_size 0
		.amdhsa_kernarg_size 328
		.amdhsa_user_sgpr_count 6
		.amdhsa_user_sgpr_private_segment_buffer 1
		.amdhsa_user_sgpr_dispatch_ptr 0
		.amdhsa_user_sgpr_queue_ptr 0
		.amdhsa_user_sgpr_kernarg_segment_ptr 1
		.amdhsa_user_sgpr_dispatch_id 0
		.amdhsa_user_sgpr_flat_scratch_init 0
		.amdhsa_user_sgpr_private_segment_size 0
		.amdhsa_uses_dynamic_stack 0
		.amdhsa_system_sgpr_private_segment_wavefront_offset 0
		.amdhsa_system_sgpr_workgroup_id_x 1
		.amdhsa_system_sgpr_workgroup_id_y 0
		.amdhsa_system_sgpr_workgroup_id_z 0
		.amdhsa_system_sgpr_workgroup_info 0
		.amdhsa_system_vgpr_workitem_id 0
		.amdhsa_next_free_vgpr 29
		.amdhsa_next_free_sgpr 61
		.amdhsa_reserve_vcc 1
		.amdhsa_reserve_flat_scratch 0
		.amdhsa_float_round_mode_32 0
		.amdhsa_float_round_mode_16_64 0
		.amdhsa_float_denorm_mode_32 3
		.amdhsa_float_denorm_mode_16_64 3
		.amdhsa_dx10_clamp 1
		.amdhsa_ieee_mode 1
		.amdhsa_fp16_overflow 0
		.amdhsa_exception_fp_ieee_invalid_op 0
		.amdhsa_exception_fp_denorm_src 0
		.amdhsa_exception_fp_ieee_div_zero 0
		.amdhsa_exception_fp_ieee_overflow 0
		.amdhsa_exception_fp_ieee_underflow 0
		.amdhsa_exception_fp_ieee_inexact 0
		.amdhsa_exception_int_div_zero 0
	.end_amdhsa_kernel
	.section	.text._ZN2at6native12_GLOBAL__N_122cdist_kernel_cuda_implIdNS1_5distsIdE3oneEEEvPT_PKS6_S9_S6_lllll,"axG",@progbits,_ZN2at6native12_GLOBAL__N_122cdist_kernel_cuda_implIdNS1_5distsIdE3oneEEEvPT_PKS6_S9_S6_lllll,comdat
.Lfunc_end2:
	.size	_ZN2at6native12_GLOBAL__N_122cdist_kernel_cuda_implIdNS1_5distsIdE3oneEEEvPT_PKS6_S9_S6_lllll, .Lfunc_end2-_ZN2at6native12_GLOBAL__N_122cdist_kernel_cuda_implIdNS1_5distsIdE3oneEEEvPT_PKS6_S9_S6_lllll
                                        ; -- End function
	.set _ZN2at6native12_GLOBAL__N_122cdist_kernel_cuda_implIdNS1_5distsIdE3oneEEEvPT_PKS6_S9_S6_lllll.num_vgpr, 17
	.set _ZN2at6native12_GLOBAL__N_122cdist_kernel_cuda_implIdNS1_5distsIdE3oneEEEvPT_PKS6_S9_S6_lllll.num_agpr, 0
	.set _ZN2at6native12_GLOBAL__N_122cdist_kernel_cuda_implIdNS1_5distsIdE3oneEEEvPT_PKS6_S9_S6_lllll.numbered_sgpr, 37
	.set _ZN2at6native12_GLOBAL__N_122cdist_kernel_cuda_implIdNS1_5distsIdE3oneEEEvPT_PKS6_S9_S6_lllll.num_named_barrier, 0
	.set _ZN2at6native12_GLOBAL__N_122cdist_kernel_cuda_implIdNS1_5distsIdE3oneEEEvPT_PKS6_S9_S6_lllll.private_seg_size, 0
	.set _ZN2at6native12_GLOBAL__N_122cdist_kernel_cuda_implIdNS1_5distsIdE3oneEEEvPT_PKS6_S9_S6_lllll.uses_vcc, 1
	.set _ZN2at6native12_GLOBAL__N_122cdist_kernel_cuda_implIdNS1_5distsIdE3oneEEEvPT_PKS6_S9_S6_lllll.uses_flat_scratch, 0
	.set _ZN2at6native12_GLOBAL__N_122cdist_kernel_cuda_implIdNS1_5distsIdE3oneEEEvPT_PKS6_S9_S6_lllll.has_dyn_sized_stack, 0
	.set _ZN2at6native12_GLOBAL__N_122cdist_kernel_cuda_implIdNS1_5distsIdE3oneEEEvPT_PKS6_S9_S6_lllll.has_recursion, 0
	.set _ZN2at6native12_GLOBAL__N_122cdist_kernel_cuda_implIdNS1_5distsIdE3oneEEEvPT_PKS6_S9_S6_lllll.has_indirect_call, 0
	.section	.AMDGPU.csdata,"",@progbits
; Kernel info:
; codeLenInByte = 2400
; TotalNumSgprs: 41
; NumVgprs: 17
; ScratchSize: 0
; MemoryBound: 0
; FloatMode: 240
; IeeeMode: 1
; LDSByteSize: 2048 bytes/workgroup (compile time only)
; SGPRBlocks: 8
; VGPRBlocks: 7
; NumSGPRsForWavesPerEU: 65
; NumVGPRsForWavesPerEU: 29
; Occupancy: 8
; WaveLimiterHint : 0
; COMPUTE_PGM_RSRC2:SCRATCH_EN: 0
; COMPUTE_PGM_RSRC2:USER_SGPR: 6
; COMPUTE_PGM_RSRC2:TRAP_HANDLER: 0
; COMPUTE_PGM_RSRC2:TGID_X_EN: 1
; COMPUTE_PGM_RSRC2:TGID_Y_EN: 0
; COMPUTE_PGM_RSRC2:TGID_Z_EN: 0
; COMPUTE_PGM_RSRC2:TIDIG_COMP_CNT: 0
	.section	.text._ZN2at6native12_GLOBAL__N_122cdist_kernel_cuda_implIdNS1_5distsIdE3twoEEEvPT_PKS6_S9_S6_lllll,"axG",@progbits,_ZN2at6native12_GLOBAL__N_122cdist_kernel_cuda_implIdNS1_5distsIdE3twoEEEvPT_PKS6_S9_S6_lllll,comdat
	.globl	_ZN2at6native12_GLOBAL__N_122cdist_kernel_cuda_implIdNS1_5distsIdE3twoEEEvPT_PKS6_S9_S6_lllll ; -- Begin function _ZN2at6native12_GLOBAL__N_122cdist_kernel_cuda_implIdNS1_5distsIdE3twoEEEvPT_PKS6_S9_S6_lllll
	.p2align	8
	.type	_ZN2at6native12_GLOBAL__N_122cdist_kernel_cuda_implIdNS1_5distsIdE3twoEEEvPT_PKS6_S9_S6_lllll,@function
_ZN2at6native12_GLOBAL__N_122cdist_kernel_cuda_implIdNS1_5distsIdE3twoEEEvPT_PKS6_S9_S6_lllll: ; @_ZN2at6native12_GLOBAL__N_122cdist_kernel_cuda_implIdNS1_5distsIdE3twoEEEvPT_PKS6_S9_S6_lllll
; %bb.0:
	s_load_dwordx8 s[8:15], s[4:5], 0x20
	s_load_dwordx2 s[0:1], s[4:5], 0x40
	s_mov_b32 s7, 0
	s_mov_b32 s2, s7
	s_waitcnt lgkmcnt(0)
	s_mov_b32 s3, s13
	s_cmp_lg_u64 s[2:3], 0
	s_cbranch_scc0 .LBB3_19
; %bb.1:
	s_ashr_i32 s2, s13, 31
	s_add_u32 s16, s12, s2
	s_mov_b32 s3, s2
	s_addc_u32 s17, s13, s2
	s_xor_b64 s[18:19], s[16:17], s[2:3]
	v_cvt_f32_u32_e32 v1, s18
	v_cvt_f32_u32_e32 v2, s19
	s_sub_u32 s22, 0, s18
	s_subb_u32 s23, 0, s19
	v_madmk_f32 v1, v2, 0x4f800000, v1
	v_rcp_f32_e32 v1, v1
	v_mul_f32_e32 v1, 0x5f7ffffc, v1
	v_mul_f32_e32 v2, 0x2f800000, v1
	v_trunc_f32_e32 v2, v2
	v_madmk_f32 v1, v2, 0xcf800000, v1
	v_cvt_u32_f32_e32 v2, v2
	v_cvt_u32_f32_e32 v1, v1
	v_readfirstlane_b32 s24, v2
	v_readfirstlane_b32 s20, v1
	s_mul_i32 s21, s22, s24
	s_mul_hi_u32 s26, s22, s20
	s_mul_i32 s25, s23, s20
	s_add_i32 s21, s26, s21
	s_add_i32 s21, s21, s25
	s_mul_i32 s27, s22, s20
	s_mul_i32 s26, s20, s21
	s_mul_hi_u32 s28, s20, s27
	s_mul_hi_u32 s25, s20, s21
	s_add_u32 s26, s28, s26
	s_addc_u32 s25, 0, s25
	s_mul_hi_u32 s29, s24, s27
	s_mul_i32 s27, s24, s27
	s_add_u32 s26, s26, s27
	s_mul_hi_u32 s28, s24, s21
	s_addc_u32 s25, s25, s29
	s_addc_u32 s26, s28, 0
	s_mul_i32 s21, s24, s21
	s_add_u32 s21, s25, s21
	s_addc_u32 s25, 0, s26
	s_add_u32 s26, s20, s21
	s_cselect_b64 s[20:21], -1, 0
	s_cmp_lg_u64 s[20:21], 0
	s_addc_u32 s24, s24, s25
	s_mul_i32 s20, s22, s24
	s_mul_hi_u32 s21, s22, s26
	s_add_i32 s20, s21, s20
	s_mul_i32 s23, s23, s26
	s_add_i32 s20, s20, s23
	s_mul_i32 s22, s22, s26
	s_mul_hi_u32 s23, s24, s22
	s_mul_i32 s25, s24, s22
	s_mul_i32 s28, s26, s20
	s_mul_hi_u32 s22, s26, s22
	s_mul_hi_u32 s27, s26, s20
	s_add_u32 s22, s22, s28
	s_addc_u32 s27, 0, s27
	s_add_u32 s22, s22, s25
	s_mul_hi_u32 s21, s24, s20
	s_addc_u32 s22, s27, s23
	s_addc_u32 s21, s21, 0
	s_mul_i32 s20, s24, s20
	s_add_u32 s20, s22, s20
	s_addc_u32 s22, 0, s21
	s_add_u32 s23, s26, s20
	s_cselect_b64 s[20:21], -1, 0
	s_cmp_lg_u64 s[20:21], 0
	s_addc_u32 s22, s24, s22
	s_add_u32 s20, s6, 0
	s_addc_u32 s21, 0, 0
	s_xor_b64 s[20:21], s[20:21], 0
	s_mul_i32 s25, s20, s22
	s_mul_hi_u32 s26, s20, s23
	s_mul_hi_u32 s24, s20, s22
	s_add_u32 s25, s26, s25
	s_addc_u32 s24, 0, s24
	s_mul_hi_u32 s27, s21, s23
	s_mul_i32 s23, s21, s23
	s_add_u32 s23, s25, s23
	s_mul_hi_u32 s26, s21, s22
	s_addc_u32 s23, s24, s27
	s_addc_u32 s24, s26, 0
	s_mul_i32 s22, s21, s22
	s_add_u32 s26, s23, s22
	s_addc_u32 s27, 0, s24
	s_mul_i32 s22, s18, s27
	s_mul_hi_u32 s23, s18, s26
	s_add_i32 s22, s23, s22
	s_mul_i32 s23, s19, s26
	s_add_i32 s28, s22, s23
	s_sub_i32 s24, s21, s28
	s_mul_i32 s22, s18, s26
	s_sub_u32 s20, s20, s22
	s_cselect_b64 s[22:23], -1, 0
	s_cmp_lg_u64 s[22:23], 0
	s_subb_u32 s29, s24, s19
	s_sub_u32 s30, s20, s18
	s_cselect_b64 s[24:25], -1, 0
	s_cmp_lg_u64 s[24:25], 0
	s_subb_u32 s24, s29, 0
	s_cmp_ge_u32 s24, s19
	s_cselect_b32 s25, -1, 0
	s_cmp_ge_u32 s30, s18
	s_cselect_b32 s29, -1, 0
	s_cmp_eq_u32 s24, s19
	s_cselect_b32 s24, s29, s25
	s_add_u32 s25, s26, 1
	s_addc_u32 s29, s27, 0
	s_add_u32 s30, s26, 2
	s_addc_u32 s31, s27, 0
	s_cmp_lg_u32 s24, 0
	s_cselect_b32 s24, s30, s25
	s_cselect_b32 s25, s31, s29
	s_cmp_lg_u64 s[22:23], 0
	s_subb_u32 s21, s21, s28
	s_cmp_ge_u32 s21, s19
	s_cselect_b32 s22, -1, 0
	s_cmp_ge_u32 s20, s18
	s_cselect_b32 s18, -1, 0
	s_cmp_eq_u32 s21, s19
	s_cselect_b32 s18, s18, s22
	s_cmp_lg_u32 s18, 0
	s_cselect_b32 s19, s25, s27
	s_cselect_b32 s18, s24, s26
	s_xor_b64 s[2:3], 0, s[2:3]
	s_xor_b64 s[18:19], s[18:19], s[2:3]
	s_sub_u32 s2, s18, s2
	s_subb_u32 s3, s19, s3
	s_cbranch_execnz .LBB3_3
.LBB3_2:
	v_cvt_f32_u32_e32 v1, s12
	s_sub_i32 s2, 0, s12
	s_mov_b32 s3, 0
	v_rcp_iflag_f32_e32 v1, v1
	v_mul_f32_e32 v1, 0x4f7ffffe, v1
	v_cvt_u32_f32_e32 v1, v1
	v_readfirstlane_b32 s16, v1
	s_mul_i32 s2, s2, s16
	s_mul_hi_u32 s2, s16, s2
	s_add_i32 s16, s16, s2
	s_mul_hi_u32 s2, s6, s16
	s_mul_i32 s17, s2, s12
	s_sub_i32 s17, s6, s17
	s_add_i32 s16, s2, 1
	s_sub_i32 s18, s17, s12
	s_cmp_ge_u32 s17, s12
	s_cselect_b32 s2, s16, s2
	s_cselect_b32 s17, s18, s17
	s_add_i32 s16, s2, 1
	s_cmp_ge_u32 s17, s12
	s_cselect_b32 s2, s16, s2
.LBB3_3:
	s_mul_i32 s13, s2, s13
	s_mul_hi_u32 s16, s2, s12
	s_add_i32 s13, s16, s13
	s_mul_i32 s16, s3, s12
	s_add_i32 s13, s13, s16
	s_mul_i32 s12, s2, s12
	s_sub_u32 s12, s6, s12
	s_subb_u32 s13, 0, s13
	s_or_b64 s[16:17], s[12:13], s[8:9]
	s_mov_b32 s16, 0
	s_cmp_lg_u64 s[16:17], 0
	s_cbranch_scc0 .LBB3_20
; %bb.4:
	s_ashr_i32 s16, s9, 31
	s_add_u32 s18, s8, s16
	s_mov_b32 s17, s16
	s_addc_u32 s19, s9, s16
	s_xor_b64 s[20:21], s[18:19], s[16:17]
	v_cvt_f32_u32_e32 v1, s20
	v_cvt_f32_u32_e32 v2, s21
	s_sub_u32 s24, 0, s20
	s_subb_u32 s25, 0, s21
	v_madmk_f32 v1, v2, 0x4f800000, v1
	v_rcp_f32_e32 v1, v1
	v_mul_f32_e32 v1, 0x5f7ffffc, v1
	v_mul_f32_e32 v2, 0x2f800000, v1
	v_trunc_f32_e32 v2, v2
	v_madmk_f32 v1, v2, 0xcf800000, v1
	v_cvt_u32_f32_e32 v2, v2
	v_cvt_u32_f32_e32 v1, v1
	v_readfirstlane_b32 s26, v2
	v_readfirstlane_b32 s22, v1
	s_mul_i32 s23, s24, s26
	s_mul_hi_u32 s28, s24, s22
	s_mul_i32 s27, s25, s22
	s_add_i32 s23, s28, s23
	s_add_i32 s23, s23, s27
	s_mul_i32 s29, s24, s22
	s_mul_i32 s28, s22, s23
	s_mul_hi_u32 s30, s22, s29
	s_mul_hi_u32 s27, s22, s23
	s_add_u32 s28, s30, s28
	s_addc_u32 s27, 0, s27
	s_mul_hi_u32 s31, s26, s29
	s_mul_i32 s29, s26, s29
	s_add_u32 s28, s28, s29
	s_mul_hi_u32 s30, s26, s23
	s_addc_u32 s27, s27, s31
	s_addc_u32 s28, s30, 0
	s_mul_i32 s23, s26, s23
	s_add_u32 s23, s27, s23
	s_addc_u32 s27, 0, s28
	s_add_u32 s28, s22, s23
	s_cselect_b64 s[22:23], -1, 0
	s_cmp_lg_u64 s[22:23], 0
	s_addc_u32 s26, s26, s27
	s_mul_i32 s22, s24, s26
	s_mul_hi_u32 s23, s24, s28
	s_add_i32 s22, s23, s22
	s_mul_i32 s25, s25, s28
	s_add_i32 s22, s22, s25
	s_mul_i32 s24, s24, s28
	s_mul_hi_u32 s25, s26, s24
	s_mul_i32 s27, s26, s24
	s_mul_i32 s30, s28, s22
	s_mul_hi_u32 s24, s28, s24
	s_mul_hi_u32 s29, s28, s22
	s_add_u32 s24, s24, s30
	s_addc_u32 s29, 0, s29
	s_add_u32 s24, s24, s27
	s_mul_hi_u32 s23, s26, s22
	s_addc_u32 s24, s29, s25
	s_addc_u32 s23, s23, 0
	s_mul_i32 s22, s26, s22
	s_add_u32 s22, s24, s22
	s_addc_u32 s24, 0, s23
	s_add_u32 s27, s28, s22
	s_cselect_b64 s[22:23], -1, 0
	s_cmp_lg_u64 s[22:23], 0
	s_addc_u32 s26, s26, s24
	s_ashr_i32 s22, s13, 31
	s_add_u32 s24, s12, s22
	s_mov_b32 s23, s22
	s_addc_u32 s25, s13, s22
	s_xor_b64 s[24:25], s[24:25], s[22:23]
	s_mul_i32 s29, s24, s26
	s_mul_hi_u32 s30, s24, s27
	s_mul_hi_u32 s28, s24, s26
	s_add_u32 s29, s30, s29
	s_addc_u32 s28, 0, s28
	s_mul_hi_u32 s31, s25, s27
	s_mul_i32 s27, s25, s27
	s_add_u32 s27, s29, s27
	s_mul_hi_u32 s30, s25, s26
	s_addc_u32 s27, s28, s31
	s_addc_u32 s28, s30, 0
	s_mul_i32 s26, s25, s26
	s_add_u32 s30, s27, s26
	s_addc_u32 s31, 0, s28
	s_mul_i32 s26, s20, s31
	s_mul_hi_u32 s27, s20, s30
	s_add_i32 s26, s27, s26
	s_mul_i32 s27, s21, s30
	s_add_i32 s33, s26, s27
	s_sub_i32 s28, s25, s33
	s_mul_i32 s26, s20, s30
	s_sub_u32 s24, s24, s26
	s_cselect_b64 s[26:27], -1, 0
	s_cmp_lg_u64 s[26:27], 0
	s_subb_u32 s34, s28, s21
	s_sub_u32 s35, s24, s20
	s_cselect_b64 s[28:29], -1, 0
	s_cmp_lg_u64 s[28:29], 0
	s_subb_u32 s28, s34, 0
	s_cmp_ge_u32 s28, s21
	s_cselect_b32 s29, -1, 0
	s_cmp_ge_u32 s35, s20
	s_cselect_b32 s34, -1, 0
	s_cmp_eq_u32 s28, s21
	s_cselect_b32 s28, s34, s29
	s_add_u32 s29, s30, 1
	s_addc_u32 s34, s31, 0
	s_add_u32 s35, s30, 2
	s_addc_u32 s36, s31, 0
	s_cmp_lg_u32 s28, 0
	s_cselect_b32 s28, s35, s29
	s_cselect_b32 s29, s36, s34
	s_cmp_lg_u64 s[26:27], 0
	s_subb_u32 s25, s25, s33
	s_cmp_ge_u32 s25, s21
	s_cselect_b32 s26, -1, 0
	s_cmp_ge_u32 s24, s20
	s_cselect_b32 s20, -1, 0
	s_cmp_eq_u32 s25, s21
	s_cselect_b32 s20, s20, s26
	s_cmp_lg_u32 s20, 0
	s_cselect_b32 s21, s29, s31
	s_cselect_b32 s20, s28, s30
	s_xor_b64 s[16:17], s[22:23], s[16:17]
	s_xor_b64 s[20:21], s[20:21], s[16:17]
	s_sub_u32 s20, s20, s16
	s_subb_u32 s21, s21, s17
	s_cbranch_execnz .LBB3_6
.LBB3_5:
	v_cvt_f32_u32_e32 v1, s8
	s_sub_i32 s16, 0, s8
	s_mov_b32 s21, 0
	v_rcp_iflag_f32_e32 v1, v1
	v_mul_f32_e32 v1, 0x4f7ffffe, v1
	v_cvt_u32_f32_e32 v1, v1
	v_readfirstlane_b32 s17, v1
	s_mul_i32 s16, s16, s17
	s_mul_hi_u32 s16, s17, s16
	s_add_i32 s17, s17, s16
	s_mul_hi_u32 s16, s12, s17
	s_mul_i32 s18, s16, s8
	s_sub_i32 s18, s12, s18
	s_add_i32 s17, s16, 1
	s_sub_i32 s19, s18, s8
	s_cmp_ge_u32 s18, s8
	s_cselect_b32 s16, s17, s16
	s_cselect_b32 s18, s19, s18
	s_add_i32 s17, s16, 1
	s_cmp_ge_u32 s18, s8
	s_cselect_b32 s20, s17, s16
.LBB3_6:
	s_load_dwordx4 s[16:19], s[4:5], 0x0
	s_load_dwordx2 s[22:23], s[4:5], 0x10
	s_load_dword s24, s[4:5], 0x54
	v_mov_b32_e32 v1, 0
	v_cmp_gt_i64_e32 vcc, s[10:11], v[0:1]
	v_mov_b32_e32 v3, 0
	v_mov_b32_e32 v4, 0
	s_and_saveexec_b64 s[4:5], vcc
	s_cbranch_execz .LBB3_10
; %bb.7:
	s_mul_i32 s15, s2, s15
	s_mul_hi_u32 s25, s2, s14
	s_add_i32 s15, s25, s15
	s_mul_i32 s25, s3, s14
	s_add_i32 s15, s15, s25
	s_mul_i32 s14, s2, s14
	s_lshl_b64 s[14:15], s[14:15], 3
	s_waitcnt lgkmcnt(0)
	s_add_u32 s18, s18, s14
	s_addc_u32 s19, s19, s15
	s_mul_i32 s14, s20, s11
	s_mul_hi_u32 s15, s20, s10
	s_add_i32 s14, s15, s14
	s_mul_i32 s15, s21, s10
	s_add_i32 s15, s14, s15
	s_mul_i32 s14, s20, s10
	s_lshl_b64 s[14:15], s[14:15], 3
	s_add_u32 s18, s18, s14
	s_addc_u32 s19, s19, s15
	s_lshl_b64 s[14:15], s[10:11], 3
	s_add_u32 s14, s18, s14
	s_mul_i32 s1, s2, s1
	s_mul_hi_u32 s25, s2, s0
	s_addc_u32 s15, s19, s15
	s_add_i32 s1, s25, s1
	s_mul_i32 s3, s3, s0
	s_add_i32 s1, s1, s3
	s_mul_i32 s0, s2, s0
	s_lshl_b64 s[0:1], s[0:1], 3
	s_add_u32 s2, s22, s0
	s_addc_u32 s3, s23, s1
	s_mul_i32 s0, s20, s9
	s_mul_hi_u32 s1, s20, s8
	s_add_i32 s0, s1, s0
	s_mul_i32 s1, s21, s8
	s_add_i32 s0, s0, s1
	s_mul_i32 s1, s20, s8
	s_sub_u32 s8, s12, s1
	s_subb_u32 s0, s13, s0
	s_mul_i32 s1, s8, s11
	s_mul_hi_u32 s9, s8, s10
	s_add_i32 s1, s9, s1
	s_mul_i32 s0, s0, s10
	s_add_i32 s1, s1, s0
	s_mul_i32 s0, s8, s10
	s_lshl_b64 s[0:1], s[0:1], 3
	v_lshlrev_b32_e32 v5, 3, v0
	s_add_u32 s8, s2, s0
	v_mov_b32_e32 v6, v1
	v_mov_b32_e32 v2, s19
	v_add_co_u32_e32 v1, vcc, s18, v5
	s_addc_u32 s0, s3, s1
	s_and_b32 s1, s24, 0xffff
	v_mov_b32_e32 v3, 0
	v_addc_co_u32_e32 v2, vcc, 0, v2, vcc
	s_lshl_b32 s9, s1, 3
	v_mov_b32_e32 v4, 0
	s_mov_b64 s[2:3], 0
	v_mov_b32_e32 v7, s0
	v_mov_b32_e32 v8, s19
	s_lshl_b32 s10, s1, 3
.LBB3_8:                                ; =>This Inner Loop Header: Depth=1
	v_add_co_u32_e32 v9, vcc, s8, v5
	v_addc_co_u32_e32 v10, vcc, v7, v6, vcc
	v_add_co_u32_e32 v11, vcc, s18, v5
	v_addc_co_u32_e32 v12, vcc, v8, v6, vcc
	global_load_dwordx2 v[13:14], v[11:12], off
	global_load_dwordx2 v[15:16], v[9:10], off
	v_add_co_u32_e32 v1, vcc, s10, v1
	v_addc_co_u32_e32 v2, vcc, 0, v2, vcc
	v_cmp_le_u64_e64 s[0:1], s[14:15], v[1:2]
	v_add_co_u32_e32 v5, vcc, s9, v5
	s_or_b64 s[2:3], s[0:1], s[2:3]
	v_addc_co_u32_e32 v6, vcc, 0, v6, vcc
	s_waitcnt vmcnt(0)
	v_add_f64 v[9:10], v[13:14], -v[15:16]
	v_fma_f64 v[3:4], v[9:10], v[9:10], v[3:4]
	s_andn2_b64 exec, exec, s[2:3]
	s_cbranch_execnz .LBB3_8
; %bb.9:
	s_or_b64 exec, exec, s[2:3]
.LBB3_10:
	s_or_b64 exec, exec, s[4:5]
	v_mbcnt_lo_u32_b32 v1, -1, 0
	v_mbcnt_hi_u32_b32 v10, -1, v1
	v_mov_b32_e32 v1, 0x80
	v_lshl_or_b32 v5, v10, 2, v1
	ds_bpermute_b32 v1, v5, v3
	ds_bpermute_b32 v2, v5, v4
	v_and_b32_e32 v12, 63, v10
	v_cmp_gt_u32_e32 vcc, 48, v12
	v_and_b32_e32 v11, 63, v0
	s_waitcnt lgkmcnt(0)
	v_add_f64 v[1:2], v[3:4], v[1:2]
	v_cndmask_b32_e64 v3, 0, 16, vcc
	v_add_lshl_u32 v6, v3, v10, 2
	v_cmp_gt_u32_e32 vcc, 56, v12
	s_barrier
	ds_bpermute_b32 v3, v6, v1
	ds_bpermute_b32 v4, v6, v2
	s_waitcnt lgkmcnt(0)
	v_add_f64 v[1:2], v[1:2], v[3:4]
	v_cndmask_b32_e64 v3, 0, 8, vcc
	v_add_lshl_u32 v7, v3, v10, 2
	v_cmp_gt_u32_e32 vcc, 60, v12
	ds_bpermute_b32 v3, v7, v1
	ds_bpermute_b32 v4, v7, v2
	s_waitcnt lgkmcnt(0)
	v_add_f64 v[1:2], v[1:2], v[3:4]
	v_cndmask_b32_e64 v3, 0, 4, vcc
	v_add_lshl_u32 v8, v3, v10, 2
	v_cmp_gt_u32_e32 vcc, 62, v12
	ds_bpermute_b32 v3, v8, v1
	ds_bpermute_b32 v4, v8, v2
	s_waitcnt lgkmcnt(0)
	v_add_f64 v[1:2], v[1:2], v[3:4]
	v_cndmask_b32_e64 v3, 0, 2, vcc
	v_add_lshl_u32 v9, v3, v10, 2
	v_cmp_ne_u32_e32 vcc, 63, v12
	ds_bpermute_b32 v3, v9, v1
	ds_bpermute_b32 v4, v9, v2
	s_waitcnt lgkmcnt(0)
	v_add_f64 v[1:2], v[1:2], v[3:4]
	v_addc_co_u32_e32 v3, vcc, 0, v10, vcc
	v_lshlrev_b32_e32 v10, 2, v3
	v_cmp_eq_u32_e32 vcc, 0, v11
	ds_bpermute_b32 v3, v10, v1
	ds_bpermute_b32 v4, v10, v2
	s_and_saveexec_b64 s[0:1], vcc
	s_cbranch_execz .LBB3_12
; %bb.11:
	s_waitcnt lgkmcnt(0)
	v_add_f64 v[1:2], v[1:2], v[3:4]
	v_lshrrev_b32_e32 v3, 3, v0
	ds_write_b64 v3, v[1:2]
.LBB3_12:
	s_or_b64 exec, exec, s[0:1]
	s_and_b32 s0, 0xffff, s24
	s_lshr_b32 s0, s0, 6
	v_mov_b32_e32 v1, 0
	v_mov_b32_e32 v2, 0
	v_cmp_gt_u32_e32 vcc, s0, v0
	s_waitcnt lgkmcnt(0)
	s_barrier
	s_and_saveexec_b64 s[0:1], vcc
	s_cbranch_execnz .LBB3_16
; %bb.13:
	s_or_b64 exec, exec, s[0:1]
	v_cmp_gt_u32_e32 vcc, 64, v0
	s_and_saveexec_b64 s[0:1], vcc
	s_cbranch_execnz .LBB3_17
.LBB3_14:
	s_or_b64 exec, exec, s[0:1]
	v_cmp_eq_u32_e32 vcc, 0, v0
	s_and_saveexec_b64 s[0:1], vcc
	s_cbranch_execnz .LBB3_18
.LBB3_15:
	s_endpgm
.LBB3_16:
	v_lshlrev_b32_e32 v1, 3, v11
	ds_read_b64 v[1:2], v1
	s_or_b64 exec, exec, s[0:1]
	v_cmp_gt_u32_e32 vcc, 64, v0
	s_and_saveexec_b64 s[0:1], vcc
	s_cbranch_execz .LBB3_14
.LBB3_17:
	s_waitcnt lgkmcnt(0)
	ds_bpermute_b32 v3, v5, v1
	ds_bpermute_b32 v4, v5, v2
	s_waitcnt lgkmcnt(0)
	v_add_f64 v[1:2], v[1:2], v[3:4]
	ds_bpermute_b32 v3, v6, v1
	ds_bpermute_b32 v4, v6, v2
	s_waitcnt lgkmcnt(0)
	v_add_f64 v[1:2], v[1:2], v[3:4]
	;; [unrolled: 4-line block ×6, first 2 shown]
	s_or_b64 exec, exec, s[0:1]
	v_cmp_eq_u32_e32 vcc, 0, v0
	s_and_saveexec_b64 s[0:1], vcc
	s_cbranch_execz .LBB3_15
.LBB3_18:
	s_mov_b32 s0, 0
	s_brev_b32 s1, 8
	s_waitcnt lgkmcnt(0)
	v_cmp_gt_f64_e32 vcc, s[0:1], v[1:2]
	v_mov_b32_e32 v0, 0x100
	s_lshl_b64 s[0:1], s[6:7], 3
	s_add_u32 s0, s16, s0
	s_addc_u32 s1, s17, s1
	v_cndmask_b32_e32 v0, 0, v0, vcc
	v_ldexp_f64 v[0:1], v[1:2], v0
	v_rsq_f64_e32 v[2:3], v[0:1]
	v_mul_f64 v[4:5], v[0:1], v[2:3]
	v_mul_f64 v[2:3], v[2:3], 0.5
	v_fma_f64 v[6:7], -v[2:3], v[4:5], 0.5
	v_fma_f64 v[4:5], v[4:5], v[6:7], v[4:5]
	v_fma_f64 v[2:3], v[2:3], v[6:7], v[2:3]
	v_fma_f64 v[6:7], -v[4:5], v[4:5], v[0:1]
	v_fma_f64 v[4:5], v[6:7], v[2:3], v[4:5]
	v_fma_f64 v[6:7], -v[4:5], v[4:5], v[0:1]
	v_fma_f64 v[2:3], v[6:7], v[2:3], v[4:5]
	v_mov_b32_e32 v4, 0xffffff80
	v_mov_b32_e32 v5, 0x260
	v_cndmask_b32_e32 v4, 0, v4, vcc
	v_cmp_class_f64_e32 vcc, v[0:1], v5
	v_ldexp_f64 v[2:3], v[2:3], v4
	v_mov_b32_e32 v4, 0
	v_cndmask_b32_e32 v1, v3, v1, vcc
	v_cndmask_b32_e32 v0, v2, v0, vcc
	global_store_dwordx2 v4, v[0:1], s[0:1]
	s_endpgm
.LBB3_19:
                                        ; implicit-def: $sgpr2_sgpr3
	s_branch .LBB3_2
.LBB3_20:
                                        ; implicit-def: $sgpr20_sgpr21
	s_branch .LBB3_5
	.section	.rodata,"a",@progbits
	.p2align	6, 0x0
	.amdhsa_kernel _ZN2at6native12_GLOBAL__N_122cdist_kernel_cuda_implIdNS1_5distsIdE3twoEEEvPT_PKS6_S9_S6_lllll
		.amdhsa_group_segment_fixed_size 2048
		.amdhsa_private_segment_fixed_size 0
		.amdhsa_kernarg_size 328
		.amdhsa_user_sgpr_count 6
		.amdhsa_user_sgpr_private_segment_buffer 1
		.amdhsa_user_sgpr_dispatch_ptr 0
		.amdhsa_user_sgpr_queue_ptr 0
		.amdhsa_user_sgpr_kernarg_segment_ptr 1
		.amdhsa_user_sgpr_dispatch_id 0
		.amdhsa_user_sgpr_flat_scratch_init 0
		.amdhsa_user_sgpr_private_segment_size 0
		.amdhsa_uses_dynamic_stack 0
		.amdhsa_system_sgpr_private_segment_wavefront_offset 0
		.amdhsa_system_sgpr_workgroup_id_x 1
		.amdhsa_system_sgpr_workgroup_id_y 0
		.amdhsa_system_sgpr_workgroup_id_z 0
		.amdhsa_system_sgpr_workgroup_info 0
		.amdhsa_system_vgpr_workitem_id 0
		.amdhsa_next_free_vgpr 29
		.amdhsa_next_free_sgpr 61
		.amdhsa_reserve_vcc 1
		.amdhsa_reserve_flat_scratch 0
		.amdhsa_float_round_mode_32 0
		.amdhsa_float_round_mode_16_64 0
		.amdhsa_float_denorm_mode_32 3
		.amdhsa_float_denorm_mode_16_64 3
		.amdhsa_dx10_clamp 1
		.amdhsa_ieee_mode 1
		.amdhsa_fp16_overflow 0
		.amdhsa_exception_fp_ieee_invalid_op 0
		.amdhsa_exception_fp_denorm_src 0
		.amdhsa_exception_fp_ieee_div_zero 0
		.amdhsa_exception_fp_ieee_overflow 0
		.amdhsa_exception_fp_ieee_underflow 0
		.amdhsa_exception_fp_ieee_inexact 0
		.amdhsa_exception_int_div_zero 0
	.end_amdhsa_kernel
	.section	.text._ZN2at6native12_GLOBAL__N_122cdist_kernel_cuda_implIdNS1_5distsIdE3twoEEEvPT_PKS6_S9_S6_lllll,"axG",@progbits,_ZN2at6native12_GLOBAL__N_122cdist_kernel_cuda_implIdNS1_5distsIdE3twoEEEvPT_PKS6_S9_S6_lllll,comdat
.Lfunc_end3:
	.size	_ZN2at6native12_GLOBAL__N_122cdist_kernel_cuda_implIdNS1_5distsIdE3twoEEEvPT_PKS6_S9_S6_lllll, .Lfunc_end3-_ZN2at6native12_GLOBAL__N_122cdist_kernel_cuda_implIdNS1_5distsIdE3twoEEEvPT_PKS6_S9_S6_lllll
                                        ; -- End function
	.set _ZN2at6native12_GLOBAL__N_122cdist_kernel_cuda_implIdNS1_5distsIdE3twoEEEvPT_PKS6_S9_S6_lllll.num_vgpr, 17
	.set _ZN2at6native12_GLOBAL__N_122cdist_kernel_cuda_implIdNS1_5distsIdE3twoEEEvPT_PKS6_S9_S6_lllll.num_agpr, 0
	.set _ZN2at6native12_GLOBAL__N_122cdist_kernel_cuda_implIdNS1_5distsIdE3twoEEEvPT_PKS6_S9_S6_lllll.numbered_sgpr, 37
	.set _ZN2at6native12_GLOBAL__N_122cdist_kernel_cuda_implIdNS1_5distsIdE3twoEEEvPT_PKS6_S9_S6_lllll.num_named_barrier, 0
	.set _ZN2at6native12_GLOBAL__N_122cdist_kernel_cuda_implIdNS1_5distsIdE3twoEEEvPT_PKS6_S9_S6_lllll.private_seg_size, 0
	.set _ZN2at6native12_GLOBAL__N_122cdist_kernel_cuda_implIdNS1_5distsIdE3twoEEEvPT_PKS6_S9_S6_lllll.uses_vcc, 1
	.set _ZN2at6native12_GLOBAL__N_122cdist_kernel_cuda_implIdNS1_5distsIdE3twoEEEvPT_PKS6_S9_S6_lllll.uses_flat_scratch, 0
	.set _ZN2at6native12_GLOBAL__N_122cdist_kernel_cuda_implIdNS1_5distsIdE3twoEEEvPT_PKS6_S9_S6_lllll.has_dyn_sized_stack, 0
	.set _ZN2at6native12_GLOBAL__N_122cdist_kernel_cuda_implIdNS1_5distsIdE3twoEEEvPT_PKS6_S9_S6_lllll.has_recursion, 0
	.set _ZN2at6native12_GLOBAL__N_122cdist_kernel_cuda_implIdNS1_5distsIdE3twoEEEvPT_PKS6_S9_S6_lllll.has_indirect_call, 0
	.section	.AMDGPU.csdata,"",@progbits
; Kernel info:
; codeLenInByte = 2548
; TotalNumSgprs: 41
; NumVgprs: 17
; ScratchSize: 0
; MemoryBound: 0
; FloatMode: 240
; IeeeMode: 1
; LDSByteSize: 2048 bytes/workgroup (compile time only)
; SGPRBlocks: 8
; VGPRBlocks: 7
; NumSGPRsForWavesPerEU: 65
; NumVGPRsForWavesPerEU: 29
; Occupancy: 8
; WaveLimiterHint : 0
; COMPUTE_PGM_RSRC2:SCRATCH_EN: 0
; COMPUTE_PGM_RSRC2:USER_SGPR: 6
; COMPUTE_PGM_RSRC2:TRAP_HANDLER: 0
; COMPUTE_PGM_RSRC2:TGID_X_EN: 1
; COMPUTE_PGM_RSRC2:TGID_Y_EN: 0
; COMPUTE_PGM_RSRC2:TGID_Z_EN: 0
; COMPUTE_PGM_RSRC2:TIDIG_COMP_CNT: 0
	.section	.text._ZN2at6native12_GLOBAL__N_122cdist_kernel_cuda_implIdNS1_5distsIdE3infEEEvPT_PKS6_S9_S6_lllll,"axG",@progbits,_ZN2at6native12_GLOBAL__N_122cdist_kernel_cuda_implIdNS1_5distsIdE3infEEEvPT_PKS6_S9_S6_lllll,comdat
	.globl	_ZN2at6native12_GLOBAL__N_122cdist_kernel_cuda_implIdNS1_5distsIdE3infEEEvPT_PKS6_S9_S6_lllll ; -- Begin function _ZN2at6native12_GLOBAL__N_122cdist_kernel_cuda_implIdNS1_5distsIdE3infEEEvPT_PKS6_S9_S6_lllll
	.p2align	8
	.type	_ZN2at6native12_GLOBAL__N_122cdist_kernel_cuda_implIdNS1_5distsIdE3infEEEvPT_PKS6_S9_S6_lllll,@function
_ZN2at6native12_GLOBAL__N_122cdist_kernel_cuda_implIdNS1_5distsIdE3infEEEvPT_PKS6_S9_S6_lllll: ; @_ZN2at6native12_GLOBAL__N_122cdist_kernel_cuda_implIdNS1_5distsIdE3infEEEvPT_PKS6_S9_S6_lllll
; %bb.0:
	s_load_dwordx8 s[8:15], s[4:5], 0x20
	s_load_dwordx2 s[0:1], s[4:5], 0x40
	s_mov_b32 s7, 0
	s_mov_b32 s2, s7
	s_waitcnt lgkmcnt(0)
	s_mov_b32 s3, s13
	s_cmp_lg_u64 s[2:3], 0
	s_cbranch_scc0 .LBB4_19
; %bb.1:
	s_ashr_i32 s2, s13, 31
	s_add_u32 s16, s12, s2
	s_mov_b32 s3, s2
	s_addc_u32 s17, s13, s2
	s_xor_b64 s[18:19], s[16:17], s[2:3]
	v_cvt_f32_u32_e32 v1, s18
	v_cvt_f32_u32_e32 v2, s19
	s_sub_u32 s22, 0, s18
	s_subb_u32 s23, 0, s19
	v_madmk_f32 v1, v2, 0x4f800000, v1
	v_rcp_f32_e32 v1, v1
	v_mul_f32_e32 v1, 0x5f7ffffc, v1
	v_mul_f32_e32 v2, 0x2f800000, v1
	v_trunc_f32_e32 v2, v2
	v_madmk_f32 v1, v2, 0xcf800000, v1
	v_cvt_u32_f32_e32 v2, v2
	v_cvt_u32_f32_e32 v1, v1
	v_readfirstlane_b32 s24, v2
	v_readfirstlane_b32 s20, v1
	s_mul_i32 s21, s22, s24
	s_mul_hi_u32 s26, s22, s20
	s_mul_i32 s25, s23, s20
	s_add_i32 s21, s26, s21
	s_add_i32 s21, s21, s25
	s_mul_i32 s27, s22, s20
	s_mul_i32 s26, s20, s21
	s_mul_hi_u32 s28, s20, s27
	s_mul_hi_u32 s25, s20, s21
	s_add_u32 s26, s28, s26
	s_addc_u32 s25, 0, s25
	s_mul_hi_u32 s29, s24, s27
	s_mul_i32 s27, s24, s27
	s_add_u32 s26, s26, s27
	s_mul_hi_u32 s28, s24, s21
	s_addc_u32 s25, s25, s29
	s_addc_u32 s26, s28, 0
	s_mul_i32 s21, s24, s21
	s_add_u32 s21, s25, s21
	s_addc_u32 s25, 0, s26
	s_add_u32 s26, s20, s21
	s_cselect_b64 s[20:21], -1, 0
	s_cmp_lg_u64 s[20:21], 0
	s_addc_u32 s24, s24, s25
	s_mul_i32 s20, s22, s24
	s_mul_hi_u32 s21, s22, s26
	s_add_i32 s20, s21, s20
	s_mul_i32 s23, s23, s26
	s_add_i32 s20, s20, s23
	s_mul_i32 s22, s22, s26
	s_mul_hi_u32 s23, s24, s22
	s_mul_i32 s25, s24, s22
	s_mul_i32 s28, s26, s20
	s_mul_hi_u32 s22, s26, s22
	s_mul_hi_u32 s27, s26, s20
	s_add_u32 s22, s22, s28
	s_addc_u32 s27, 0, s27
	s_add_u32 s22, s22, s25
	s_mul_hi_u32 s21, s24, s20
	s_addc_u32 s22, s27, s23
	s_addc_u32 s21, s21, 0
	s_mul_i32 s20, s24, s20
	s_add_u32 s20, s22, s20
	s_addc_u32 s22, 0, s21
	s_add_u32 s23, s26, s20
	s_cselect_b64 s[20:21], -1, 0
	s_cmp_lg_u64 s[20:21], 0
	s_addc_u32 s22, s24, s22
	s_add_u32 s20, s6, 0
	s_addc_u32 s21, 0, 0
	s_xor_b64 s[20:21], s[20:21], 0
	s_mul_i32 s25, s20, s22
	s_mul_hi_u32 s26, s20, s23
	s_mul_hi_u32 s24, s20, s22
	s_add_u32 s25, s26, s25
	s_addc_u32 s24, 0, s24
	s_mul_hi_u32 s27, s21, s23
	s_mul_i32 s23, s21, s23
	s_add_u32 s23, s25, s23
	s_mul_hi_u32 s26, s21, s22
	s_addc_u32 s23, s24, s27
	s_addc_u32 s24, s26, 0
	s_mul_i32 s22, s21, s22
	s_add_u32 s26, s23, s22
	s_addc_u32 s27, 0, s24
	s_mul_i32 s22, s18, s27
	s_mul_hi_u32 s23, s18, s26
	s_add_i32 s22, s23, s22
	s_mul_i32 s23, s19, s26
	s_add_i32 s28, s22, s23
	s_sub_i32 s24, s21, s28
	s_mul_i32 s22, s18, s26
	s_sub_u32 s20, s20, s22
	s_cselect_b64 s[22:23], -1, 0
	s_cmp_lg_u64 s[22:23], 0
	s_subb_u32 s29, s24, s19
	s_sub_u32 s30, s20, s18
	s_cselect_b64 s[24:25], -1, 0
	s_cmp_lg_u64 s[24:25], 0
	s_subb_u32 s24, s29, 0
	s_cmp_ge_u32 s24, s19
	s_cselect_b32 s25, -1, 0
	s_cmp_ge_u32 s30, s18
	s_cselect_b32 s29, -1, 0
	s_cmp_eq_u32 s24, s19
	s_cselect_b32 s24, s29, s25
	s_add_u32 s25, s26, 1
	s_addc_u32 s29, s27, 0
	s_add_u32 s30, s26, 2
	s_addc_u32 s31, s27, 0
	s_cmp_lg_u32 s24, 0
	s_cselect_b32 s24, s30, s25
	s_cselect_b32 s25, s31, s29
	s_cmp_lg_u64 s[22:23], 0
	s_subb_u32 s21, s21, s28
	s_cmp_ge_u32 s21, s19
	s_cselect_b32 s22, -1, 0
	s_cmp_ge_u32 s20, s18
	s_cselect_b32 s18, -1, 0
	s_cmp_eq_u32 s21, s19
	s_cselect_b32 s18, s18, s22
	s_cmp_lg_u32 s18, 0
	s_cselect_b32 s19, s25, s27
	s_cselect_b32 s18, s24, s26
	s_xor_b64 s[2:3], 0, s[2:3]
	s_xor_b64 s[18:19], s[18:19], s[2:3]
	s_sub_u32 s2, s18, s2
	s_subb_u32 s3, s19, s3
	s_cbranch_execnz .LBB4_3
.LBB4_2:
	v_cvt_f32_u32_e32 v1, s12
	s_sub_i32 s2, 0, s12
	s_mov_b32 s3, 0
	v_rcp_iflag_f32_e32 v1, v1
	v_mul_f32_e32 v1, 0x4f7ffffe, v1
	v_cvt_u32_f32_e32 v1, v1
	v_readfirstlane_b32 s16, v1
	s_mul_i32 s2, s2, s16
	s_mul_hi_u32 s2, s16, s2
	s_add_i32 s16, s16, s2
	s_mul_hi_u32 s2, s6, s16
	s_mul_i32 s17, s2, s12
	s_sub_i32 s17, s6, s17
	s_add_i32 s16, s2, 1
	s_sub_i32 s18, s17, s12
	s_cmp_ge_u32 s17, s12
	s_cselect_b32 s2, s16, s2
	s_cselect_b32 s17, s18, s17
	s_add_i32 s16, s2, 1
	s_cmp_ge_u32 s17, s12
	s_cselect_b32 s2, s16, s2
.LBB4_3:
	s_mul_i32 s13, s2, s13
	s_mul_hi_u32 s16, s2, s12
	s_add_i32 s13, s16, s13
	s_mul_i32 s16, s3, s12
	s_add_i32 s13, s13, s16
	s_mul_i32 s12, s2, s12
	s_sub_u32 s12, s6, s12
	s_subb_u32 s13, 0, s13
	s_or_b64 s[16:17], s[12:13], s[8:9]
	s_mov_b32 s16, 0
	s_cmp_lg_u64 s[16:17], 0
	s_cbranch_scc0 .LBB4_20
; %bb.4:
	s_ashr_i32 s16, s9, 31
	s_add_u32 s18, s8, s16
	s_mov_b32 s17, s16
	s_addc_u32 s19, s9, s16
	s_xor_b64 s[20:21], s[18:19], s[16:17]
	v_cvt_f32_u32_e32 v1, s20
	v_cvt_f32_u32_e32 v2, s21
	s_sub_u32 s24, 0, s20
	s_subb_u32 s25, 0, s21
	v_madmk_f32 v1, v2, 0x4f800000, v1
	v_rcp_f32_e32 v1, v1
	v_mul_f32_e32 v1, 0x5f7ffffc, v1
	v_mul_f32_e32 v2, 0x2f800000, v1
	v_trunc_f32_e32 v2, v2
	v_madmk_f32 v1, v2, 0xcf800000, v1
	v_cvt_u32_f32_e32 v2, v2
	v_cvt_u32_f32_e32 v1, v1
	v_readfirstlane_b32 s26, v2
	v_readfirstlane_b32 s22, v1
	s_mul_i32 s23, s24, s26
	s_mul_hi_u32 s28, s24, s22
	s_mul_i32 s27, s25, s22
	s_add_i32 s23, s28, s23
	s_add_i32 s23, s23, s27
	s_mul_i32 s29, s24, s22
	s_mul_i32 s28, s22, s23
	s_mul_hi_u32 s30, s22, s29
	s_mul_hi_u32 s27, s22, s23
	s_add_u32 s28, s30, s28
	s_addc_u32 s27, 0, s27
	s_mul_hi_u32 s31, s26, s29
	s_mul_i32 s29, s26, s29
	s_add_u32 s28, s28, s29
	s_mul_hi_u32 s30, s26, s23
	s_addc_u32 s27, s27, s31
	s_addc_u32 s28, s30, 0
	s_mul_i32 s23, s26, s23
	s_add_u32 s23, s27, s23
	s_addc_u32 s27, 0, s28
	s_add_u32 s28, s22, s23
	s_cselect_b64 s[22:23], -1, 0
	s_cmp_lg_u64 s[22:23], 0
	s_addc_u32 s26, s26, s27
	s_mul_i32 s22, s24, s26
	s_mul_hi_u32 s23, s24, s28
	s_add_i32 s22, s23, s22
	s_mul_i32 s25, s25, s28
	s_add_i32 s22, s22, s25
	s_mul_i32 s24, s24, s28
	s_mul_hi_u32 s25, s26, s24
	s_mul_i32 s27, s26, s24
	s_mul_i32 s30, s28, s22
	s_mul_hi_u32 s24, s28, s24
	s_mul_hi_u32 s29, s28, s22
	s_add_u32 s24, s24, s30
	s_addc_u32 s29, 0, s29
	s_add_u32 s24, s24, s27
	s_mul_hi_u32 s23, s26, s22
	s_addc_u32 s24, s29, s25
	s_addc_u32 s23, s23, 0
	s_mul_i32 s22, s26, s22
	s_add_u32 s22, s24, s22
	s_addc_u32 s24, 0, s23
	s_add_u32 s27, s28, s22
	s_cselect_b64 s[22:23], -1, 0
	s_cmp_lg_u64 s[22:23], 0
	s_addc_u32 s26, s26, s24
	s_ashr_i32 s22, s13, 31
	s_add_u32 s24, s12, s22
	s_mov_b32 s23, s22
	s_addc_u32 s25, s13, s22
	s_xor_b64 s[24:25], s[24:25], s[22:23]
	s_mul_i32 s29, s24, s26
	s_mul_hi_u32 s30, s24, s27
	s_mul_hi_u32 s28, s24, s26
	s_add_u32 s29, s30, s29
	s_addc_u32 s28, 0, s28
	s_mul_hi_u32 s31, s25, s27
	s_mul_i32 s27, s25, s27
	s_add_u32 s27, s29, s27
	s_mul_hi_u32 s30, s25, s26
	s_addc_u32 s27, s28, s31
	s_addc_u32 s28, s30, 0
	s_mul_i32 s26, s25, s26
	s_add_u32 s30, s27, s26
	s_addc_u32 s31, 0, s28
	s_mul_i32 s26, s20, s31
	s_mul_hi_u32 s27, s20, s30
	s_add_i32 s26, s27, s26
	s_mul_i32 s27, s21, s30
	s_add_i32 s33, s26, s27
	s_sub_i32 s28, s25, s33
	s_mul_i32 s26, s20, s30
	s_sub_u32 s24, s24, s26
	s_cselect_b64 s[26:27], -1, 0
	s_cmp_lg_u64 s[26:27], 0
	s_subb_u32 s34, s28, s21
	s_sub_u32 s35, s24, s20
	s_cselect_b64 s[28:29], -1, 0
	s_cmp_lg_u64 s[28:29], 0
	s_subb_u32 s28, s34, 0
	s_cmp_ge_u32 s28, s21
	s_cselect_b32 s29, -1, 0
	s_cmp_ge_u32 s35, s20
	s_cselect_b32 s34, -1, 0
	s_cmp_eq_u32 s28, s21
	s_cselect_b32 s28, s34, s29
	s_add_u32 s29, s30, 1
	s_addc_u32 s34, s31, 0
	s_add_u32 s35, s30, 2
	s_addc_u32 s36, s31, 0
	s_cmp_lg_u32 s28, 0
	s_cselect_b32 s28, s35, s29
	s_cselect_b32 s29, s36, s34
	s_cmp_lg_u64 s[26:27], 0
	s_subb_u32 s25, s25, s33
	s_cmp_ge_u32 s25, s21
	s_cselect_b32 s26, -1, 0
	s_cmp_ge_u32 s24, s20
	s_cselect_b32 s20, -1, 0
	s_cmp_eq_u32 s25, s21
	s_cselect_b32 s20, s20, s26
	s_cmp_lg_u32 s20, 0
	s_cselect_b32 s21, s29, s31
	s_cselect_b32 s20, s28, s30
	s_xor_b64 s[16:17], s[22:23], s[16:17]
	s_xor_b64 s[20:21], s[20:21], s[16:17]
	s_sub_u32 s20, s20, s16
	s_subb_u32 s21, s21, s17
	s_cbranch_execnz .LBB4_6
.LBB4_5:
	v_cvt_f32_u32_e32 v1, s8
	s_sub_i32 s16, 0, s8
	s_mov_b32 s21, 0
	v_rcp_iflag_f32_e32 v1, v1
	v_mul_f32_e32 v1, 0x4f7ffffe, v1
	v_cvt_u32_f32_e32 v1, v1
	v_readfirstlane_b32 s17, v1
	s_mul_i32 s16, s16, s17
	s_mul_hi_u32 s16, s17, s16
	s_add_i32 s17, s17, s16
	s_mul_hi_u32 s16, s12, s17
	s_mul_i32 s18, s16, s8
	s_sub_i32 s18, s12, s18
	s_add_i32 s17, s16, 1
	s_sub_i32 s19, s18, s8
	s_cmp_ge_u32 s18, s8
	s_cselect_b32 s16, s17, s16
	s_cselect_b32 s18, s19, s18
	s_add_i32 s17, s16, 1
	s_cmp_ge_u32 s18, s8
	s_cselect_b32 s20, s17, s16
.LBB4_6:
	s_load_dwordx4 s[16:19], s[4:5], 0x0
	s_load_dwordx2 s[22:23], s[4:5], 0x10
	s_load_dword s24, s[4:5], 0x54
	v_mov_b32_e32 v1, 0
	v_cmp_gt_i64_e32 vcc, s[10:11], v[0:1]
	v_mov_b32_e32 v3, 0
	v_mov_b32_e32 v4, 0
	s_and_saveexec_b64 s[4:5], vcc
	s_cbranch_execz .LBB4_10
; %bb.7:
	s_mul_i32 s15, s2, s15
	s_mul_hi_u32 s25, s2, s14
	s_add_i32 s15, s25, s15
	s_mul_i32 s25, s3, s14
	s_add_i32 s15, s15, s25
	s_mul_i32 s14, s2, s14
	s_lshl_b64 s[14:15], s[14:15], 3
	s_waitcnt lgkmcnt(0)
	s_add_u32 s18, s18, s14
	s_addc_u32 s19, s19, s15
	s_mul_i32 s14, s20, s11
	s_mul_hi_u32 s15, s20, s10
	s_add_i32 s14, s15, s14
	s_mul_i32 s15, s21, s10
	s_add_i32 s15, s14, s15
	s_mul_i32 s14, s20, s10
	s_lshl_b64 s[14:15], s[14:15], 3
	s_add_u32 s18, s18, s14
	s_addc_u32 s19, s19, s15
	s_lshl_b64 s[14:15], s[10:11], 3
	s_add_u32 s14, s18, s14
	s_mul_i32 s1, s2, s1
	s_mul_hi_u32 s25, s2, s0
	s_addc_u32 s15, s19, s15
	s_add_i32 s1, s25, s1
	s_mul_i32 s3, s3, s0
	s_add_i32 s1, s1, s3
	s_mul_i32 s0, s2, s0
	s_lshl_b64 s[0:1], s[0:1], 3
	s_add_u32 s2, s22, s0
	s_addc_u32 s3, s23, s1
	s_mul_i32 s0, s20, s9
	s_mul_hi_u32 s1, s20, s8
	s_add_i32 s0, s1, s0
	s_mul_i32 s1, s21, s8
	s_add_i32 s0, s0, s1
	s_mul_i32 s1, s20, s8
	s_sub_u32 s8, s12, s1
	s_subb_u32 s0, s13, s0
	s_mul_i32 s1, s8, s11
	s_mul_hi_u32 s9, s8, s10
	s_add_i32 s1, s9, s1
	s_mul_i32 s0, s0, s10
	s_add_i32 s1, s1, s0
	s_mul_i32 s0, s8, s10
	s_lshl_b64 s[0:1], s[0:1], 3
	v_lshlrev_b32_e32 v5, 3, v0
	s_add_u32 s8, s2, s0
	v_mov_b32_e32 v6, v1
	v_mov_b32_e32 v2, s19
	v_add_co_u32_e32 v1, vcc, s18, v5
	s_addc_u32 s0, s3, s1
	s_and_b32 s1, s24, 0xffff
	v_mov_b32_e32 v3, 0
	v_addc_co_u32_e32 v2, vcc, 0, v2, vcc
	s_lshl_b32 s9, s1, 3
	v_mov_b32_e32 v4, 0
	s_mov_b64 s[2:3], 0
	v_mov_b32_e32 v7, s0
	v_mov_b32_e32 v8, s19
	s_lshl_b32 s10, s1, 3
.LBB4_8:                                ; =>This Inner Loop Header: Depth=1
	v_add_co_u32_e32 v9, vcc, s8, v5
	v_addc_co_u32_e32 v10, vcc, v7, v6, vcc
	v_add_co_u32_e32 v11, vcc, s18, v5
	v_addc_co_u32_e32 v12, vcc, v8, v6, vcc
	global_load_dwordx2 v[13:14], v[11:12], off
	global_load_dwordx2 v[15:16], v[9:10], off
	v_add_co_u32_e32 v1, vcc, s10, v1
	v_addc_co_u32_e32 v2, vcc, 0, v2, vcc
	v_add_co_u32_e64 v5, s[0:1], s9, v5
	v_addc_co_u32_e64 v6, s[0:1], 0, v6, s[0:1]
	v_cmp_le_u64_e64 s[0:1], s[14:15], v[1:2]
	s_or_b64 s[2:3], s[0:1], s[2:3]
	s_waitcnt vmcnt(0)
	v_add_f64 v[9:10], v[13:14], -v[15:16]
	v_cmp_gt_f64_e64 vcc, |v[9:10]|, v[3:4]
	v_and_b32_e32 v11, 0x7fffffff, v10
	v_cndmask_b32_e32 v4, v4, v11, vcc
	v_cndmask_b32_e32 v3, v3, v9, vcc
	s_andn2_b64 exec, exec, s[2:3]
	s_cbranch_execnz .LBB4_8
; %bb.9:
	s_or_b64 exec, exec, s[2:3]
.LBB4_10:
	s_or_b64 exec, exec, s[4:5]
	v_mbcnt_lo_u32_b32 v1, -1, 0
	v_mbcnt_hi_u32_b32 v10, -1, v1
	v_mov_b32_e32 v1, 0x80
	v_lshl_or_b32 v5, v10, 2, v1
	ds_bpermute_b32 v1, v5, v3
	ds_bpermute_b32 v2, v5, v4
	v_and_b32_e32 v12, 63, v10
	v_cmp_gt_u32_e64 s[0:1], 48, v12
	v_cndmask_b32_e64 v6, 0, 16, s[0:1]
	v_add_lshl_u32 v6, v6, v10, 2
	s_waitcnt lgkmcnt(0)
	v_cmp_lt_f64_e32 vcc, v[3:4], v[1:2]
	v_cmp_gt_u32_e64 s[0:1], 56, v12
	v_cndmask_b32_e64 v7, 0, 8, s[0:1]
	v_add_lshl_u32 v7, v7, v10, 2
	v_cmp_gt_u32_e64 s[0:1], 60, v12
	v_cndmask_b32_e64 v8, 0, 4, s[0:1]
	v_add_lshl_u32 v8, v8, v10, 2
	v_cmp_gt_u32_e64 s[0:1], 62, v12
	v_cndmask_b32_e32 v2, v4, v2, vcc
	v_cndmask_b32_e32 v1, v3, v1, vcc
	ds_bpermute_b32 v4, v6, v2
	ds_bpermute_b32 v3, v6, v1
	v_cndmask_b32_e64 v9, 0, 2, s[0:1]
	v_add_lshl_u32 v9, v9, v10, 2
	v_cmp_ne_u32_e64 s[0:1], 63, v12
	v_addc_co_u32_e64 v10, s[0:1], 0, v10, s[0:1]
	s_waitcnt lgkmcnt(0)
	v_cmp_lt_f64_e32 vcc, v[1:2], v[3:4]
	v_lshlrev_b32_e32 v10, 2, v10
	v_and_b32_e32 v11, 63, v0
	s_barrier
	v_cndmask_b32_e32 v2, v2, v4, vcc
	v_cndmask_b32_e32 v1, v1, v3, vcc
	ds_bpermute_b32 v4, v7, v2
	ds_bpermute_b32 v3, v7, v1
	s_waitcnt lgkmcnt(0)
	v_cmp_lt_f64_e32 vcc, v[1:2], v[3:4]
	v_cndmask_b32_e32 v2, v2, v4, vcc
	v_cndmask_b32_e32 v1, v1, v3, vcc
	ds_bpermute_b32 v4, v8, v2
	ds_bpermute_b32 v3, v8, v1
	s_waitcnt lgkmcnt(0)
	v_cmp_lt_f64_e32 vcc, v[1:2], v[3:4]
	;; [unrolled: 6-line block ×3, first 2 shown]
	v_cndmask_b32_e32 v2, v2, v4, vcc
	v_cndmask_b32_e32 v1, v1, v3, vcc
	ds_bpermute_b32 v3, v10, v1
	ds_bpermute_b32 v12, v10, v2
	v_cmp_eq_u32_e32 vcc, 0, v11
	s_and_saveexec_b64 s[0:1], vcc
	s_cbranch_execz .LBB4_12
; %bb.11:
	s_waitcnt lgkmcnt(0)
	v_mov_b32_e32 v4, v12
	v_cmp_lt_f64_e32 vcc, v[1:2], v[3:4]
	v_lshrrev_b32_e32 v4, 3, v0
	v_cndmask_b32_e32 v2, v2, v12, vcc
	v_cndmask_b32_e32 v1, v1, v3, vcc
	ds_write_b64 v4, v[1:2]
.LBB4_12:
	s_or_b64 exec, exec, s[0:1]
	s_and_b32 s0, 0xffff, s24
	s_lshr_b32 s0, s0, 6
	v_mov_b32_e32 v1, 0
	v_mov_b32_e32 v2, 0
	v_cmp_gt_u32_e32 vcc, s0, v0
	s_waitcnt lgkmcnt(0)
	s_barrier
	s_and_saveexec_b64 s[0:1], vcc
	s_cbranch_execnz .LBB4_16
; %bb.13:
	s_or_b64 exec, exec, s[0:1]
	v_cmp_gt_u32_e32 vcc, 64, v0
	s_and_saveexec_b64 s[0:1], vcc
	s_cbranch_execnz .LBB4_17
.LBB4_14:
	s_or_b64 exec, exec, s[0:1]
	v_cmp_eq_u32_e32 vcc, 0, v0
	s_and_saveexec_b64 s[0:1], vcc
	s_cbranch_execnz .LBB4_18
.LBB4_15:
	s_endpgm
.LBB4_16:
	v_lshlrev_b32_e32 v1, 3, v11
	ds_read_b64 v[1:2], v1
	s_or_b64 exec, exec, s[0:1]
	v_cmp_gt_u32_e32 vcc, 64, v0
	s_and_saveexec_b64 s[0:1], vcc
	s_cbranch_execz .LBB4_14
.LBB4_17:
	s_waitcnt lgkmcnt(0)
	ds_bpermute_b32 v11, v5, v2
	ds_bpermute_b32 v3, v5, v1
	s_waitcnt lgkmcnt(1)
	v_mov_b32_e32 v4, v11
	s_waitcnt lgkmcnt(0)
	v_cmp_lt_f64_e32 vcc, v[1:2], v[3:4]
	v_cndmask_b32_e32 v2, v2, v11, vcc
	ds_bpermute_b32 v5, v6, v2
	v_cndmask_b32_e32 v1, v1, v3, vcc
	ds_bpermute_b32 v3, v6, v1
	s_waitcnt lgkmcnt(1)
	v_mov_b32_e32 v4, v5
	s_waitcnt lgkmcnt(0)
	v_cmp_lt_f64_e32 vcc, v[1:2], v[3:4]
	v_cndmask_b32_e32 v2, v2, v5, vcc
	ds_bpermute_b32 v5, v7, v2
	v_cndmask_b32_e32 v1, v1, v3, vcc
	;; [unrolled: 8-line block ×4, first 2 shown]
	ds_bpermute_b32 v3, v9, v1
	s_waitcnt lgkmcnt(1)
	v_mov_b32_e32 v4, v5
	s_waitcnt lgkmcnt(0)
	v_cmp_lt_f64_e32 vcc, v[1:2], v[3:4]
	v_cndmask_b32_e32 v2, v2, v5, vcc
	v_cndmask_b32_e32 v1, v1, v3, vcc
	ds_bpermute_b32 v5, v10, v2
	ds_bpermute_b32 v3, v10, v1
	s_waitcnt lgkmcnt(1)
	v_mov_b32_e32 v4, v5
	s_waitcnt lgkmcnt(0)
	v_cmp_lt_f64_e32 vcc, v[1:2], v[3:4]
	v_cndmask_b32_e32 v2, v2, v5, vcc
	v_cndmask_b32_e32 v1, v1, v3, vcc
	s_or_b64 exec, exec, s[0:1]
	v_cmp_eq_u32_e32 vcc, 0, v0
	s_and_saveexec_b64 s[0:1], vcc
	s_cbranch_execz .LBB4_15
.LBB4_18:
	s_lshl_b64 s[0:1], s[6:7], 3
	s_add_u32 s0, s16, s0
	s_addc_u32 s1, s17, s1
	v_mov_b32_e32 v0, 0
	s_waitcnt lgkmcnt(0)
	global_store_dwordx2 v0, v[1:2], s[0:1]
	s_endpgm
.LBB4_19:
                                        ; implicit-def: $sgpr2_sgpr3
	s_branch .LBB4_2
.LBB4_20:
                                        ; implicit-def: $sgpr20_sgpr21
	s_branch .LBB4_5
	.section	.rodata,"a",@progbits
	.p2align	6, 0x0
	.amdhsa_kernel _ZN2at6native12_GLOBAL__N_122cdist_kernel_cuda_implIdNS1_5distsIdE3infEEEvPT_PKS6_S9_S6_lllll
		.amdhsa_group_segment_fixed_size 2048
		.amdhsa_private_segment_fixed_size 0
		.amdhsa_kernarg_size 328
		.amdhsa_user_sgpr_count 6
		.amdhsa_user_sgpr_private_segment_buffer 1
		.amdhsa_user_sgpr_dispatch_ptr 0
		.amdhsa_user_sgpr_queue_ptr 0
		.amdhsa_user_sgpr_kernarg_segment_ptr 1
		.amdhsa_user_sgpr_dispatch_id 0
		.amdhsa_user_sgpr_flat_scratch_init 0
		.amdhsa_user_sgpr_private_segment_size 0
		.amdhsa_uses_dynamic_stack 0
		.amdhsa_system_sgpr_private_segment_wavefront_offset 0
		.amdhsa_system_sgpr_workgroup_id_x 1
		.amdhsa_system_sgpr_workgroup_id_y 0
		.amdhsa_system_sgpr_workgroup_id_z 0
		.amdhsa_system_sgpr_workgroup_info 0
		.amdhsa_system_vgpr_workitem_id 0
		.amdhsa_next_free_vgpr 29
		.amdhsa_next_free_sgpr 61
		.amdhsa_reserve_vcc 1
		.amdhsa_reserve_flat_scratch 0
		.amdhsa_float_round_mode_32 0
		.amdhsa_float_round_mode_16_64 0
		.amdhsa_float_denorm_mode_32 3
		.amdhsa_float_denorm_mode_16_64 3
		.amdhsa_dx10_clamp 1
		.amdhsa_ieee_mode 1
		.amdhsa_fp16_overflow 0
		.amdhsa_exception_fp_ieee_invalid_op 0
		.amdhsa_exception_fp_denorm_src 0
		.amdhsa_exception_fp_ieee_div_zero 0
		.amdhsa_exception_fp_ieee_overflow 0
		.amdhsa_exception_fp_ieee_underflow 0
		.amdhsa_exception_fp_ieee_inexact 0
		.amdhsa_exception_int_div_zero 0
	.end_amdhsa_kernel
	.section	.text._ZN2at6native12_GLOBAL__N_122cdist_kernel_cuda_implIdNS1_5distsIdE3infEEEvPT_PKS6_S9_S6_lllll,"axG",@progbits,_ZN2at6native12_GLOBAL__N_122cdist_kernel_cuda_implIdNS1_5distsIdE3infEEEvPT_PKS6_S9_S6_lllll,comdat
.Lfunc_end4:
	.size	_ZN2at6native12_GLOBAL__N_122cdist_kernel_cuda_implIdNS1_5distsIdE3infEEEvPT_PKS6_S9_S6_lllll, .Lfunc_end4-_ZN2at6native12_GLOBAL__N_122cdist_kernel_cuda_implIdNS1_5distsIdE3infEEEvPT_PKS6_S9_S6_lllll
                                        ; -- End function
	.set _ZN2at6native12_GLOBAL__N_122cdist_kernel_cuda_implIdNS1_5distsIdE3infEEEvPT_PKS6_S9_S6_lllll.num_vgpr, 17
	.set _ZN2at6native12_GLOBAL__N_122cdist_kernel_cuda_implIdNS1_5distsIdE3infEEEvPT_PKS6_S9_S6_lllll.num_agpr, 0
	.set _ZN2at6native12_GLOBAL__N_122cdist_kernel_cuda_implIdNS1_5distsIdE3infEEEvPT_PKS6_S9_S6_lllll.numbered_sgpr, 37
	.set _ZN2at6native12_GLOBAL__N_122cdist_kernel_cuda_implIdNS1_5distsIdE3infEEEvPT_PKS6_S9_S6_lllll.num_named_barrier, 0
	.set _ZN2at6native12_GLOBAL__N_122cdist_kernel_cuda_implIdNS1_5distsIdE3infEEEvPT_PKS6_S9_S6_lllll.private_seg_size, 0
	.set _ZN2at6native12_GLOBAL__N_122cdist_kernel_cuda_implIdNS1_5distsIdE3infEEEvPT_PKS6_S9_S6_lllll.uses_vcc, 1
	.set _ZN2at6native12_GLOBAL__N_122cdist_kernel_cuda_implIdNS1_5distsIdE3infEEEvPT_PKS6_S9_S6_lllll.uses_flat_scratch, 0
	.set _ZN2at6native12_GLOBAL__N_122cdist_kernel_cuda_implIdNS1_5distsIdE3infEEEvPT_PKS6_S9_S6_lllll.has_dyn_sized_stack, 0
	.set _ZN2at6native12_GLOBAL__N_122cdist_kernel_cuda_implIdNS1_5distsIdE3infEEEvPT_PKS6_S9_S6_lllll.has_recursion, 0
	.set _ZN2at6native12_GLOBAL__N_122cdist_kernel_cuda_implIdNS1_5distsIdE3infEEEvPT_PKS6_S9_S6_lllll.has_indirect_call, 0
	.section	.AMDGPU.csdata,"",@progbits
; Kernel info:
; codeLenInByte = 2548
; TotalNumSgprs: 41
; NumVgprs: 17
; ScratchSize: 0
; MemoryBound: 0
; FloatMode: 240
; IeeeMode: 1
; LDSByteSize: 2048 bytes/workgroup (compile time only)
; SGPRBlocks: 8
; VGPRBlocks: 7
; NumSGPRsForWavesPerEU: 65
; NumVGPRsForWavesPerEU: 29
; Occupancy: 8
; WaveLimiterHint : 0
; COMPUTE_PGM_RSRC2:SCRATCH_EN: 0
; COMPUTE_PGM_RSRC2:USER_SGPR: 6
; COMPUTE_PGM_RSRC2:TRAP_HANDLER: 0
; COMPUTE_PGM_RSRC2:TGID_X_EN: 1
; COMPUTE_PGM_RSRC2:TGID_Y_EN: 0
; COMPUTE_PGM_RSRC2:TGID_Z_EN: 0
; COMPUTE_PGM_RSRC2:TIDIG_COMP_CNT: 0
	.section	.text._ZN2at6native12_GLOBAL__N_122cdist_kernel_cuda_implIfNS1_5distsIfE1pEEEvPT_PKS6_S9_S6_lllll,"axG",@progbits,_ZN2at6native12_GLOBAL__N_122cdist_kernel_cuda_implIfNS1_5distsIfE1pEEEvPT_PKS6_S9_S6_lllll,comdat
	.globl	_ZN2at6native12_GLOBAL__N_122cdist_kernel_cuda_implIfNS1_5distsIfE1pEEEvPT_PKS6_S9_S6_lllll ; -- Begin function _ZN2at6native12_GLOBAL__N_122cdist_kernel_cuda_implIfNS1_5distsIfE1pEEEvPT_PKS6_S9_S6_lllll
	.p2align	8
	.type	_ZN2at6native12_GLOBAL__N_122cdist_kernel_cuda_implIfNS1_5distsIfE1pEEEvPT_PKS6_S9_S6_lllll,@function
_ZN2at6native12_GLOBAL__N_122cdist_kernel_cuda_implIfNS1_5distsIfE1pEEEvPT_PKS6_S9_S6_lllll: ; @_ZN2at6native12_GLOBAL__N_122cdist_kernel_cuda_implIfNS1_5distsIfE1pEEEvPT_PKS6_S9_S6_lllll
; %bb.0:
	s_load_dwordx8 s[8:15], s[4:5], 0x20
	s_load_dwordx2 s[0:1], s[4:5], 0x40
	s_mov_b32 s7, 0
	s_mov_b32 s2, s7
	s_waitcnt lgkmcnt(0)
	s_mov_b32 s3, s13
	s_cmp_lg_u64 s[2:3], 0
	s_cbranch_scc0 .LBB5_19
; %bb.1:
	s_ashr_i32 s2, s13, 31
	s_add_u32 s16, s12, s2
	s_mov_b32 s3, s2
	s_addc_u32 s17, s13, s2
	s_xor_b64 s[18:19], s[16:17], s[2:3]
	v_cvt_f32_u32_e32 v1, s18
	v_cvt_f32_u32_e32 v2, s19
	s_sub_u32 s22, 0, s18
	s_subb_u32 s23, 0, s19
	v_madmk_f32 v1, v2, 0x4f800000, v1
	v_rcp_f32_e32 v1, v1
	v_mul_f32_e32 v1, 0x5f7ffffc, v1
	v_mul_f32_e32 v2, 0x2f800000, v1
	v_trunc_f32_e32 v2, v2
	v_madmk_f32 v1, v2, 0xcf800000, v1
	v_cvt_u32_f32_e32 v2, v2
	v_cvt_u32_f32_e32 v1, v1
	v_readfirstlane_b32 s24, v2
	v_readfirstlane_b32 s20, v1
	s_mul_i32 s21, s22, s24
	s_mul_hi_u32 s26, s22, s20
	s_mul_i32 s25, s23, s20
	s_add_i32 s21, s26, s21
	s_add_i32 s21, s21, s25
	s_mul_i32 s27, s22, s20
	s_mul_i32 s26, s20, s21
	s_mul_hi_u32 s28, s20, s27
	s_mul_hi_u32 s25, s20, s21
	s_add_u32 s26, s28, s26
	s_addc_u32 s25, 0, s25
	s_mul_hi_u32 s29, s24, s27
	s_mul_i32 s27, s24, s27
	s_add_u32 s26, s26, s27
	s_mul_hi_u32 s28, s24, s21
	s_addc_u32 s25, s25, s29
	s_addc_u32 s26, s28, 0
	s_mul_i32 s21, s24, s21
	s_add_u32 s21, s25, s21
	s_addc_u32 s25, 0, s26
	s_add_u32 s26, s20, s21
	s_cselect_b64 s[20:21], -1, 0
	s_cmp_lg_u64 s[20:21], 0
	s_addc_u32 s24, s24, s25
	s_mul_i32 s20, s22, s24
	s_mul_hi_u32 s21, s22, s26
	s_add_i32 s20, s21, s20
	s_mul_i32 s23, s23, s26
	s_add_i32 s20, s20, s23
	s_mul_i32 s22, s22, s26
	s_mul_hi_u32 s23, s24, s22
	s_mul_i32 s25, s24, s22
	s_mul_i32 s28, s26, s20
	s_mul_hi_u32 s22, s26, s22
	s_mul_hi_u32 s27, s26, s20
	s_add_u32 s22, s22, s28
	s_addc_u32 s27, 0, s27
	s_add_u32 s22, s22, s25
	s_mul_hi_u32 s21, s24, s20
	s_addc_u32 s22, s27, s23
	s_addc_u32 s21, s21, 0
	s_mul_i32 s20, s24, s20
	s_add_u32 s20, s22, s20
	s_addc_u32 s22, 0, s21
	s_add_u32 s23, s26, s20
	s_cselect_b64 s[20:21], -1, 0
	s_cmp_lg_u64 s[20:21], 0
	s_addc_u32 s22, s24, s22
	s_add_u32 s20, s6, 0
	s_addc_u32 s21, 0, 0
	s_xor_b64 s[20:21], s[20:21], 0
	s_mul_i32 s25, s20, s22
	s_mul_hi_u32 s26, s20, s23
	s_mul_hi_u32 s24, s20, s22
	s_add_u32 s25, s26, s25
	s_addc_u32 s24, 0, s24
	s_mul_hi_u32 s27, s21, s23
	s_mul_i32 s23, s21, s23
	s_add_u32 s23, s25, s23
	s_mul_hi_u32 s26, s21, s22
	s_addc_u32 s23, s24, s27
	s_addc_u32 s24, s26, 0
	s_mul_i32 s22, s21, s22
	s_add_u32 s26, s23, s22
	s_addc_u32 s27, 0, s24
	s_mul_i32 s22, s18, s27
	s_mul_hi_u32 s23, s18, s26
	s_add_i32 s22, s23, s22
	s_mul_i32 s23, s19, s26
	s_add_i32 s28, s22, s23
	s_sub_i32 s24, s21, s28
	s_mul_i32 s22, s18, s26
	s_sub_u32 s20, s20, s22
	s_cselect_b64 s[22:23], -1, 0
	s_cmp_lg_u64 s[22:23], 0
	s_subb_u32 s29, s24, s19
	s_sub_u32 s30, s20, s18
	s_cselect_b64 s[24:25], -1, 0
	s_cmp_lg_u64 s[24:25], 0
	s_subb_u32 s24, s29, 0
	s_cmp_ge_u32 s24, s19
	s_cselect_b32 s25, -1, 0
	s_cmp_ge_u32 s30, s18
	s_cselect_b32 s29, -1, 0
	s_cmp_eq_u32 s24, s19
	s_cselect_b32 s24, s29, s25
	s_add_u32 s25, s26, 1
	s_addc_u32 s29, s27, 0
	s_add_u32 s30, s26, 2
	s_addc_u32 s31, s27, 0
	s_cmp_lg_u32 s24, 0
	s_cselect_b32 s24, s30, s25
	s_cselect_b32 s25, s31, s29
	s_cmp_lg_u64 s[22:23], 0
	s_subb_u32 s21, s21, s28
	s_cmp_ge_u32 s21, s19
	s_cselect_b32 s22, -1, 0
	s_cmp_ge_u32 s20, s18
	s_cselect_b32 s18, -1, 0
	s_cmp_eq_u32 s21, s19
	s_cselect_b32 s18, s18, s22
	s_cmp_lg_u32 s18, 0
	s_cselect_b32 s19, s25, s27
	s_cselect_b32 s18, s24, s26
	s_xor_b64 s[2:3], 0, s[2:3]
	s_xor_b64 s[18:19], s[18:19], s[2:3]
	s_sub_u32 s2, s18, s2
	s_subb_u32 s3, s19, s3
	s_cbranch_execnz .LBB5_3
.LBB5_2:
	v_cvt_f32_u32_e32 v1, s12
	s_sub_i32 s2, 0, s12
	s_mov_b32 s3, 0
	v_rcp_iflag_f32_e32 v1, v1
	v_mul_f32_e32 v1, 0x4f7ffffe, v1
	v_cvt_u32_f32_e32 v1, v1
	v_readfirstlane_b32 s16, v1
	s_mul_i32 s2, s2, s16
	s_mul_hi_u32 s2, s16, s2
	s_add_i32 s16, s16, s2
	s_mul_hi_u32 s2, s6, s16
	s_mul_i32 s17, s2, s12
	s_sub_i32 s17, s6, s17
	s_add_i32 s16, s2, 1
	s_sub_i32 s18, s17, s12
	s_cmp_ge_u32 s17, s12
	s_cselect_b32 s2, s16, s2
	s_cselect_b32 s17, s18, s17
	s_add_i32 s16, s2, 1
	s_cmp_ge_u32 s17, s12
	s_cselect_b32 s2, s16, s2
.LBB5_3:
	s_mul_i32 s13, s2, s13
	s_mul_hi_u32 s16, s2, s12
	s_add_i32 s13, s16, s13
	s_mul_i32 s16, s3, s12
	s_add_i32 s13, s13, s16
	s_mul_i32 s12, s2, s12
	s_sub_u32 s20, s6, s12
	s_subb_u32 s21, 0, s13
	s_or_b64 s[12:13], s[20:21], s[8:9]
	s_mov_b32 s12, 0
	s_cmp_lg_u64 s[12:13], 0
	s_cbranch_scc0 .LBB5_20
; %bb.4:
	s_ashr_i32 s12, s9, 31
	s_add_u32 s16, s8, s12
	s_mov_b32 s13, s12
	s_addc_u32 s17, s9, s12
	s_xor_b64 s[18:19], s[16:17], s[12:13]
	v_cvt_f32_u32_e32 v1, s18
	v_cvt_f32_u32_e32 v2, s19
	s_sub_u32 s24, 0, s18
	s_subb_u32 s25, 0, s19
	v_madmk_f32 v1, v2, 0x4f800000, v1
	v_rcp_f32_e32 v1, v1
	v_mul_f32_e32 v1, 0x5f7ffffc, v1
	v_mul_f32_e32 v2, 0x2f800000, v1
	v_trunc_f32_e32 v2, v2
	v_madmk_f32 v1, v2, 0xcf800000, v1
	v_cvt_u32_f32_e32 v2, v2
	v_cvt_u32_f32_e32 v1, v1
	v_readfirstlane_b32 s26, v2
	v_readfirstlane_b32 s22, v1
	s_mul_i32 s23, s24, s26
	s_mul_hi_u32 s28, s24, s22
	s_mul_i32 s27, s25, s22
	s_add_i32 s23, s28, s23
	s_add_i32 s23, s23, s27
	s_mul_i32 s29, s24, s22
	s_mul_i32 s28, s22, s23
	s_mul_hi_u32 s30, s22, s29
	s_mul_hi_u32 s27, s22, s23
	s_add_u32 s28, s30, s28
	s_addc_u32 s27, 0, s27
	s_mul_hi_u32 s31, s26, s29
	s_mul_i32 s29, s26, s29
	s_add_u32 s28, s28, s29
	s_mul_hi_u32 s30, s26, s23
	s_addc_u32 s27, s27, s31
	s_addc_u32 s28, s30, 0
	s_mul_i32 s23, s26, s23
	s_add_u32 s23, s27, s23
	s_addc_u32 s27, 0, s28
	s_add_u32 s28, s22, s23
	s_cselect_b64 s[22:23], -1, 0
	s_cmp_lg_u64 s[22:23], 0
	s_addc_u32 s26, s26, s27
	s_mul_i32 s22, s24, s26
	s_mul_hi_u32 s23, s24, s28
	s_add_i32 s22, s23, s22
	s_mul_i32 s25, s25, s28
	s_add_i32 s22, s22, s25
	s_mul_i32 s24, s24, s28
	s_mul_hi_u32 s25, s26, s24
	s_mul_i32 s27, s26, s24
	s_mul_i32 s30, s28, s22
	s_mul_hi_u32 s24, s28, s24
	s_mul_hi_u32 s29, s28, s22
	s_add_u32 s24, s24, s30
	s_addc_u32 s29, 0, s29
	s_add_u32 s24, s24, s27
	s_mul_hi_u32 s23, s26, s22
	s_addc_u32 s24, s29, s25
	s_addc_u32 s23, s23, 0
	s_mul_i32 s22, s26, s22
	s_add_u32 s22, s24, s22
	s_addc_u32 s24, 0, s23
	s_add_u32 s27, s28, s22
	s_cselect_b64 s[22:23], -1, 0
	s_cmp_lg_u64 s[22:23], 0
	s_addc_u32 s26, s26, s24
	s_ashr_i32 s22, s21, 31
	s_add_u32 s24, s20, s22
	s_mov_b32 s23, s22
	s_addc_u32 s25, s21, s22
	s_xor_b64 s[24:25], s[24:25], s[22:23]
	s_mul_i32 s29, s24, s26
	s_mul_hi_u32 s30, s24, s27
	s_mul_hi_u32 s28, s24, s26
	s_add_u32 s29, s30, s29
	s_addc_u32 s28, 0, s28
	s_mul_hi_u32 s31, s25, s27
	s_mul_i32 s27, s25, s27
	s_add_u32 s27, s29, s27
	s_mul_hi_u32 s30, s25, s26
	s_addc_u32 s27, s28, s31
	s_addc_u32 s28, s30, 0
	s_mul_i32 s26, s25, s26
	s_add_u32 s30, s27, s26
	s_addc_u32 s31, 0, s28
	s_mul_i32 s26, s18, s31
	s_mul_hi_u32 s27, s18, s30
	s_add_i32 s26, s27, s26
	s_mul_i32 s27, s19, s30
	s_add_i32 s33, s26, s27
	s_sub_i32 s28, s25, s33
	s_mul_i32 s26, s18, s30
	s_sub_u32 s24, s24, s26
	s_cselect_b64 s[26:27], -1, 0
	s_cmp_lg_u64 s[26:27], 0
	s_subb_u32 s34, s28, s19
	s_sub_u32 s35, s24, s18
	s_cselect_b64 s[28:29], -1, 0
	s_cmp_lg_u64 s[28:29], 0
	s_subb_u32 s28, s34, 0
	s_cmp_ge_u32 s28, s19
	s_cselect_b32 s29, -1, 0
	s_cmp_ge_u32 s35, s18
	s_cselect_b32 s34, -1, 0
	s_cmp_eq_u32 s28, s19
	s_cselect_b32 s28, s34, s29
	s_add_u32 s29, s30, 1
	s_addc_u32 s34, s31, 0
	s_add_u32 s35, s30, 2
	s_addc_u32 s36, s31, 0
	s_cmp_lg_u32 s28, 0
	s_cselect_b32 s28, s35, s29
	s_cselect_b32 s29, s36, s34
	s_cmp_lg_u64 s[26:27], 0
	s_subb_u32 s25, s25, s33
	s_cmp_ge_u32 s25, s19
	s_cselect_b32 s26, -1, 0
	s_cmp_ge_u32 s24, s18
	s_cselect_b32 s18, -1, 0
	s_cmp_eq_u32 s25, s19
	s_cselect_b32 s18, s18, s26
	s_cmp_lg_u32 s18, 0
	s_cselect_b32 s19, s29, s31
	s_cselect_b32 s18, s28, s30
	s_xor_b64 s[12:13], s[22:23], s[12:13]
	s_xor_b64 s[18:19], s[18:19], s[12:13]
	s_sub_u32 s22, s18, s12
	s_subb_u32 s23, s19, s13
	s_cbranch_execnz .LBB5_6
.LBB5_5:
	v_cvt_f32_u32_e32 v1, s8
	s_sub_i32 s12, 0, s8
	s_mov_b32 s23, 0
	v_rcp_iflag_f32_e32 v1, v1
	v_mul_f32_e32 v1, 0x4f7ffffe, v1
	v_cvt_u32_f32_e32 v1, v1
	v_readfirstlane_b32 s13, v1
	s_mul_i32 s12, s12, s13
	s_mul_hi_u32 s12, s13, s12
	s_add_i32 s13, s13, s12
	s_mul_hi_u32 s12, s20, s13
	s_mul_i32 s16, s12, s8
	s_sub_i32 s16, s20, s16
	s_add_i32 s13, s12, 1
	s_sub_i32 s17, s16, s8
	s_cmp_ge_u32 s16, s8
	s_cselect_b32 s12, s13, s12
	s_cselect_b32 s16, s17, s16
	s_add_i32 s13, s12, 1
	s_cmp_ge_u32 s16, s8
	s_cselect_b32 s22, s13, s12
.LBB5_6:
	s_load_dwordx4 s[16:19], s[4:5], 0x0
	s_load_dwordx2 s[24:25], s[4:5], 0x10
	s_load_dword s26, s[4:5], 0x18
	s_load_dword s27, s[4:5], 0x54
	v_mov_b32_e32 v1, 0
	v_cmp_gt_i64_e32 vcc, s[10:11], v[0:1]
	s_and_saveexec_b64 s[12:13], vcc
	s_cbranch_execz .LBB5_10
; %bb.7:
	s_mul_i32 s4, s2, s15
	s_mul_hi_u32 s5, s2, s14
	s_add_i32 s4, s5, s4
	s_mul_i32 s5, s3, s14
	s_add_i32 s5, s4, s5
	s_mul_i32 s4, s2, s14
	s_lshl_b64 s[4:5], s[4:5], 2
	s_waitcnt lgkmcnt(0)
	s_add_u32 s14, s18, s4
	s_addc_u32 s15, s19, s5
	s_mul_i32 s4, s22, s11
	s_mul_hi_u32 s5, s22, s10
	s_add_i32 s4, s5, s4
	s_mul_i32 s5, s23, s10
	s_add_i32 s5, s4, s5
	s_mul_i32 s4, s22, s10
	s_lshl_b64 s[4:5], s[4:5], 2
	s_add_u32 s18, s14, s4
	s_addc_u32 s28, s15, s5
	s_lshl_b64 s[4:5], s[10:11], 2
	s_add_u32 s14, s18, s4
	s_mul_i32 s1, s2, s1
	s_mul_hi_u32 s4, s2, s0
	s_addc_u32 s15, s28, s5
	s_add_i32 s1, s4, s1
	s_mul_i32 s3, s3, s0
	s_add_i32 s1, s1, s3
	s_mul_i32 s0, s2, s0
	s_lshl_b64 s[0:1], s[0:1], 2
	s_add_u32 s2, s24, s0
	s_addc_u32 s3, s25, s1
	s_mul_i32 s0, s22, s9
	s_mul_hi_u32 s1, s22, s8
	s_add_i32 s0, s1, s0
	s_mul_i32 s1, s23, s8
	s_add_i32 s0, s0, s1
	s_mul_i32 s1, s22, s8
	s_sub_u32 s4, s20, s1
	s_subb_u32 s0, s21, s0
	s_mul_i32 s1, s4, s11
	s_mul_hi_u32 s5, s4, s10
	s_add_i32 s1, s5, s1
	s_mul_i32 s0, s0, s10
	s_add_i32 s1, s1, s0
	s_mul_i32 s0, s4, s10
	s_lshl_b64 s[0:1], s[0:1], 2
	v_lshlrev_b32_e32 v4, 2, v0
	s_add_u32 s19, s2, s0
	v_mov_b32_e32 v5, 0
	v_mov_b32_e32 v1, s28
	v_add_co_u32_e32 v2, vcc, s18, v4
	s_addc_u32 s0, s3, s1
	s_and_b32 s1, s27, 0xffff
	v_addc_co_u32_e32 v3, vcc, 0, v1, vcc
	s_lshl_b32 s20, s1, 2
	s_mov_b64 s[10:11], 0
	v_mov_b32_e32 v6, s0
	v_mov_b32_e32 v7, s28
	;; [unrolled: 1-line block ×3, first 2 shown]
	s_mov_b32 s21, 0x3f2aaaab
	v_mov_b32_e32 v9, 0x3ecccdef
	s_mov_b32 s22, 0x3f317218
	s_movk_i32 s23, 0x204
	s_mov_b32 s24, 0x7f800000
	s_mov_b32 s25, 0x42b17218
	v_mov_b32_e32 v10, 0x37000000
	s_mov_b32 s28, 0x3fb8aa3b
	s_mov_b32 s29, 0xc2ce8ed0
	v_mov_b32_e32 v11, 0x7f800000
	v_mov_b32_e32 v12, 0x7fc00000
	s_lshl_b32 s30, s1, 2
	v_mov_b32_e32 v1, v5
.LBB5_8:                                ; =>This Inner Loop Header: Depth=1
	v_add_co_u32_e32 v13, vcc, s19, v4
	v_addc_co_u32_e32 v14, vcc, v6, v5, vcc
	v_add_co_u32_e32 v15, vcc, s18, v4
	v_addc_co_u32_e32 v16, vcc, v7, v5, vcc
	global_load_dword v17, v[15:16], off
	global_load_dword v18, v[13:14], off
	s_waitcnt vmcnt(0)
	v_sub_f32_e32 v14, v17, v18
	v_cmp_neq_f32_e64 vcc, |v14|, 1.0
	v_cndmask_b32_e32 v13, 1.0, v8, vcc
	v_cmp_neq_f32_e32 vcc, 0, v13
	v_cndmask_b32_e64 v14, 1.0, |v14|, vcc
	v_frexp_mant_f32_e32 v15, v14
	v_cmp_gt_f32_e32 vcc, s21, v15
	v_cndmask_b32_e64 v16, 1.0, 2.0, vcc
	v_mul_f32_e32 v15, v15, v16
	v_add_f32_e32 v17, 1.0, v15
	v_rcp_f32_e32 v18, v17
	v_add_f32_e32 v16, -1.0, v15
	v_add_f32_e32 v19, -1.0, v17
	v_sub_f32_e32 v15, v15, v19
	v_mul_f32_e32 v19, v16, v18
	v_mul_f32_e32 v20, v17, v19
	v_fma_f32 v17, v19, v17, -v20
	v_fmac_f32_e32 v17, v19, v15
	v_add_f32_e32 v15, v20, v17
	v_sub_f32_e32 v20, v15, v20
	v_sub_f32_e32 v17, v20, v17
	;; [unrolled: 1-line block ×5, first 2 shown]
	v_add_f32_e32 v15, v17, v15
	v_add_f32_e32 v15, v20, v15
	v_mul_f32_e32 v15, v18, v15
	v_add_f32_e32 v17, v19, v15
	v_sub_f32_e32 v16, v17, v19
	v_mul_f32_e32 v18, v17, v17
	v_sub_f32_e32 v19, v15, v16
	v_fma_f32 v15, v17, v17, -v18
	v_add_f32_e32 v16, v19, v19
	v_fmac_f32_e32 v15, v17, v16
	v_add_f32_e32 v16, v18, v15
	v_sub_f32_e32 v18, v16, v18
	v_sub_f32_e32 v15, v15, v18
	v_mov_b32_e32 v18, 0x3e91f4c4
	v_fmac_f32_e32 v18, 0x3e76c4e1, v16
	v_fma_f32 v18, v16, v18, v9
	v_mul_f32_e32 v20, v17, v16
	v_fma_f32 v21, v16, v17, -v20
	v_mul_f32_e32 v22, v16, v18
	v_fmac_f32_e32 v21, v16, v19
	v_fma_f32 v16, v16, v18, -v22
	v_fmac_f32_e32 v16, v15, v18
	v_fmac_f32_e32 v21, v15, v17
	v_add_f32_e32 v15, v22, v16
	v_sub_f32_e32 v18, v15, v22
	v_sub_f32_e32 v16, v16, v18
	v_add_f32_e32 v18, 0x3f2aaaaa, v15
	v_add_f32_e32 v22, 0xbf2aaaaa, v18
	v_sub_f32_e32 v15, v15, v22
	v_add_f32_e32 v16, 0x31739010, v16
	v_add_f32_e32 v15, v16, v15
	;; [unrolled: 1-line block ×3, first 2 shown]
	v_sub_f32_e32 v18, v18, v16
	v_add_f32_e32 v15, v15, v18
	v_add_f32_e32 v18, v20, v21
	v_mul_f32_e32 v22, v18, v16
	v_fma_f32 v23, v18, v16, -v22
	v_fmac_f32_e32 v23, v18, v15
	v_sub_f32_e32 v15, v18, v20
	v_sub_f32_e32 v15, v21, v15
	v_fmac_f32_e32 v23, v15, v16
	v_cvt_f64_f32_e32 v[15:16], v14
	v_ldexp_f32 v17, v17, 1
	v_cmp_neq_f32_e64 s[34:35], v13, |v13|
	v_cmp_gt_f32_e64 s[2:3], 1.0, v14
	v_frexp_exp_i32_f64_e32 v15, v[15:16]
	s_xor_b64 s[34:35], s[34:35], s[2:3]
	v_cmp_gt_f32_e64 s[0:1], 0, v13
	v_cmp_eq_f32_e64 s[8:9], 0, v14
	s_xor_b64 s[0:1], s[0:1], s[8:9]
	v_cmp_eq_f32_e64 s[4:5], s24, v14
	v_subbrev_co_u32_e32 v15, vcc, 0, v15, vcc
	v_cvt_f32_i32_e32 v15, v15
	v_add_co_u32_e32 v2, vcc, s30, v2
	v_addc_co_u32_e32 v3, vcc, 0, v3, vcc
	v_mul_f32_e32 v16, 0x3f317218, v15
	v_fma_f32 v18, v15, s22, -v16
	v_fmac_f32_e32 v18, 0xb102e308, v15
	v_add_f32_e32 v15, v16, v18
	v_sub_f32_e32 v16, v15, v16
	v_sub_f32_e32 v16, v18, v16
	v_add_f32_e32 v18, v22, v23
	v_add_f32_e32 v21, v17, v18
	v_sub_f32_e32 v20, v18, v22
	v_sub_f32_e32 v17, v21, v17
	;; [unrolled: 1-line block ×4, first 2 shown]
	v_ldexp_f32 v18, v19, 1
	v_add_f32_e32 v18, v18, v20
	v_add_f32_e32 v17, v18, v17
	;; [unrolled: 1-line block ×3, first 2 shown]
	v_sub_f32_e32 v19, v18, v21
	v_sub_f32_e32 v17, v17, v19
	v_add_f32_e32 v19, v15, v18
	v_sub_f32_e32 v20, v19, v15
	v_sub_f32_e32 v18, v18, v20
	v_sub_f32_e32 v20, v19, v20
	v_sub_f32_e32 v15, v15, v20
	v_add_f32_e32 v15, v18, v15
	v_add_f32_e32 v18, v16, v17
	v_sub_f32_e32 v20, v18, v16
	v_sub_f32_e32 v17, v17, v20
	;; [unrolled: 1-line block ×4, first 2 shown]
	v_add_f32_e32 v15, v18, v15
	v_add_f32_e32 v16, v17, v16
	;; [unrolled: 1-line block ×3, first 2 shown]
	v_sub_f32_e32 v18, v17, v19
	v_sub_f32_e32 v15, v15, v18
	v_add_f32_e32 v15, v16, v15
	v_add_f32_e32 v16, v17, v15
	v_sub_f32_e32 v17, v16, v17
	v_mul_f32_e32 v18, v13, v16
	v_sub_f32_e32 v15, v15, v17
	v_fma_f32 v16, v13, v16, -v18
	v_fmac_f32_e32 v16, v13, v15
	v_add_f32_e32 v15, v18, v16
	v_cmp_class_f32_e64 s[2:3], v18, s23
	v_sub_f32_e32 v17, v15, v18
	v_cndmask_b32_e64 v15, v15, v18, s[2:3]
	v_cmp_eq_f32_e64 s[2:3], s25, v15
	v_sub_f32_e32 v16, v16, v17
	v_cndmask_b32_e64 v17, 0, v10, s[2:3]
	v_cmp_neq_f32_e64 s[2:3], |v15|, s24
	v_cndmask_b32_e64 v16, 0, v16, s[2:3]
	v_sub_f32_e32 v15, v15, v17
	v_add_f32_e32 v16, v17, v16
	v_mul_f32_e32 v17, 0x3fb8aa3b, v15
	v_fma_f32 v18, v15, s28, -v17
	v_rndne_f32_e32 v19, v17
	v_fmac_f32_e32 v18, 0x32a5705f, v15
	v_sub_f32_e32 v17, v17, v19
	v_add_f32_e32 v17, v17, v18
	v_cvt_i32_f32_e32 v19, v19
	v_exp_f32_e32 v17, v17
	v_cndmask_b32_e64 v18, v11, 0, s[34:35]
	v_add_co_u32_e32 v4, vcc, s20, v4
	v_ldexp_f32 v17, v17, v19
	v_cndmask_b32_e64 v19, v11, 0, s[0:1]
	v_cmp_neq_f32_e64 s[0:1], 1.0, v14
	v_cndmask_b32_e64 v18, 1.0, v18, s[0:1]
	v_cmp_ngt_f32_e64 s[0:1], s29, v15
	v_cndmask_b32_e64 v17, 0, v17, s[0:1]
	v_cmp_nlt_f32_e64 s[0:1], s25, v15
	v_cndmask_b32_e64 v15, v11, v17, s[0:1]
	v_addc_co_u32_e32 v5, vcc, 0, v5, vcc
	v_fma_f32 v16, v15, v16, v15
	v_cmp_class_f32_e64 s[0:1], v15, s23
	v_cmp_le_u64_e32 vcc, s[14:15], v[2:3]
	v_cndmask_b32_e64 v15, v16, v15, s[0:1]
	v_cmp_class_f32_e64 s[0:1], v13, s23
	v_cndmask_b32_e64 v15, |v15|, v18, s[0:1]
	s_or_b64 s[0:1], s[8:9], s[4:5]
	v_cndmask_b32_e64 v15, v15, v19, s[0:1]
	s_or_b64 s[10:11], vcc, s[10:11]
	v_cmp_o_f32_e32 vcc, v14, v13
	v_cndmask_b32_e32 v13, v12, v15, vcc
	v_add_f32_e32 v1, v1, v13
	s_andn2_b64 exec, exec, s[10:11]
	s_cbranch_execnz .LBB5_8
; %bb.9:
	s_or_b64 exec, exec, s[10:11]
.LBB5_10:
	s_or_b64 exec, exec, s[12:13]
	v_mbcnt_lo_u32_b32 v2, -1, 0
	v_mbcnt_hi_u32_b32 v7, -1, v2
	v_mov_b32_e32 v2, 0x80
	v_lshl_or_b32 v2, v7, 2, v2
	ds_bpermute_b32 v3, v2, v1
	v_and_b32_e32 v9, 63, v7
	v_cmp_gt_u32_e32 vcc, 48, v9
	v_cndmask_b32_e64 v4, 0, 16, vcc
	v_cmp_gt_u32_e32 vcc, 56, v9
	s_waitcnt lgkmcnt(0)
	v_add_f32_e32 v1, v1, v3
	v_add_lshl_u32 v3, v4, v7, 2
	ds_bpermute_b32 v5, v3, v1
	v_cndmask_b32_e64 v4, 0, 8, vcc
	v_add_lshl_u32 v4, v4, v7, 2
	v_cmp_gt_u32_e32 vcc, 60, v9
	s_waitcnt lgkmcnt(0)
	v_add_f32_e32 v1, v1, v5
	ds_bpermute_b32 v6, v4, v1
	v_cndmask_b32_e64 v5, 0, 4, vcc
	v_add_lshl_u32 v5, v5, v7, 2
	v_cmp_gt_u32_e32 vcc, 62, v9
	s_waitcnt lgkmcnt(0)
	s_barrier
	v_add_f32_e32 v1, v1, v6
	ds_bpermute_b32 v8, v5, v1
	v_cndmask_b32_e64 v6, 0, 2, vcc
	v_add_lshl_u32 v6, v6, v7, 2
	v_cmp_ne_u32_e32 vcc, 63, v9
	v_addc_co_u32_e32 v7, vcc, 0, v7, vcc
	s_waitcnt lgkmcnt(0)
	v_add_f32_e32 v1, v1, v8
	ds_bpermute_b32 v10, v6, v1
	v_lshlrev_b32_e32 v7, 2, v7
	v_and_b32_e32 v8, 63, v0
	v_cmp_eq_u32_e32 vcc, 0, v8
	s_waitcnt lgkmcnt(0)
	v_add_f32_e32 v1, v1, v10
	ds_bpermute_b32 v9, v7, v1
	s_and_saveexec_b64 s[0:1], vcc
	s_cbranch_execz .LBB5_12
; %bb.11:
	s_waitcnt lgkmcnt(0)
	v_add_f32_e32 v1, v1, v9
	v_lshrrev_b32_e32 v9, 4, v0
	ds_write_b32 v9, v1
.LBB5_12:
	s_or_b64 exec, exec, s[0:1]
	s_and_b32 s0, 0xffff, s27
	s_lshr_b32 s0, s0, 6
	v_cmp_gt_u32_e32 vcc, s0, v0
	v_mov_b32_e32 v1, 0
	s_waitcnt lgkmcnt(0)
	s_barrier
	s_and_saveexec_b64 s[0:1], vcc
	s_cbranch_execnz .LBB5_16
; %bb.13:
	s_or_b64 exec, exec, s[0:1]
	v_cmp_gt_u32_e32 vcc, 64, v0
	s_and_saveexec_b64 s[0:1], vcc
	s_cbranch_execnz .LBB5_17
.LBB5_14:
	s_or_b64 exec, exec, s[0:1]
	v_cmp_eq_u32_e32 vcc, 0, v0
	s_and_saveexec_b64 s[0:1], vcc
	s_cbranch_execnz .LBB5_18
.LBB5_15:
	s_endpgm
.LBB5_16:
	v_lshlrev_b32_e32 v1, 2, v8
	ds_read_b32 v1, v1
	s_or_b64 exec, exec, s[0:1]
	v_cmp_gt_u32_e32 vcc, 64, v0
	s_and_saveexec_b64 s[0:1], vcc
	s_cbranch_execz .LBB5_14
.LBB5_17:
	s_waitcnt lgkmcnt(0)
	ds_bpermute_b32 v2, v2, v1
	s_waitcnt lgkmcnt(0)
	v_add_f32_e32 v1, v1, v2
	ds_bpermute_b32 v2, v3, v1
	s_waitcnt lgkmcnt(0)
	v_add_f32_e32 v1, v1, v2
	;; [unrolled: 3-line block ×6, first 2 shown]
	s_or_b64 exec, exec, s[0:1]
	v_cmp_eq_u32_e32 vcc, 0, v0
	s_and_saveexec_b64 s[0:1], vcc
	s_cbranch_execz .LBB5_15
.LBB5_18:
	v_div_scale_f32 v0, s[0:1], s26, s26, 1.0
	v_div_scale_f32 v2, vcc, 1.0, s26, 1.0
	s_mov_b32 s0, 0x3f2aaaab
	s_movk_i32 s8, 0x204
	s_mov_b32 s1, 0x42b17218
	s_mov_b32 s2, 0x3fb8aa3b
	s_brev_b32 s9, -2
	v_rcp_f32_e32 v3, v0
	v_fma_f32 v4, -v0, v3, 1.0
	v_fmac_f32_e32 v3, v4, v3
	v_mul_f32_e32 v4, v2, v3
	v_fma_f32 v5, -v0, v4, v2
	v_fmac_f32_e32 v4, v5, v3
	v_fma_f32 v0, -v0, v4, v2
	v_div_fmas_f32 v0, v0, v3, v4
	s_waitcnt lgkmcnt(0)
	v_cmp_neq_f32_e32 vcc, 1.0, v1
	v_mov_b32_e32 v4, 0x3e91f4c4
	v_mov_b32_e32 v5, 0x3ecccdef
	v_div_fixup_f32 v0, v0, s26, 1.0
	v_cndmask_b32_e32 v0, 1.0, v0, vcc
	v_cmp_neq_f32_e32 vcc, 0, v0
	v_cndmask_b32_e32 v1, 1.0, v1, vcc
	v_frexp_mant_f32_e64 v6, |v1|
	v_cmp_gt_f32_e32 vcc, s0, v6
	v_cndmask_b32_e64 v7, 1.0, 2.0, vcc
	v_mul_f32_e32 v6, v6, v7
	v_add_f32_e32 v8, 1.0, v6
	v_cvt_f64_f32_e64 v[2:3], |v1|
	v_rcp_f32_e32 v9, v8
	v_add_f32_e32 v7, -1.0, v6
	v_add_f32_e32 v10, -1.0, v8
	v_frexp_exp_i32_f64_e32 v2, v[2:3]
	v_sub_f32_e32 v3, v6, v10
	v_mul_f32_e32 v6, v7, v9
	v_mul_f32_e32 v10, v8, v6
	v_fma_f32 v8, v6, v8, -v10
	v_fmac_f32_e32 v8, v6, v3
	v_add_f32_e32 v3, v10, v8
	v_sub_f32_e32 v11, v7, v3
	v_sub_f32_e32 v10, v3, v10
	;; [unrolled: 1-line block ×5, first 2 shown]
	v_add_f32_e32 v3, v8, v3
	v_add_f32_e32 v3, v11, v3
	v_mul_f32_e32 v3, v9, v3
	v_add_f32_e32 v7, v6, v3
	v_sub_f32_e32 v6, v7, v6
	v_mul_f32_e32 v8, v7, v7
	v_sub_f32_e32 v3, v3, v6
	v_fma_f32 v6, v7, v7, -v8
	v_add_f32_e32 v9, v3, v3
	v_fmac_f32_e32 v6, v7, v9
	v_add_f32_e32 v9, v8, v6
	v_fmac_f32_e32 v4, 0x3e76c4e1, v9
	v_sub_f32_e32 v8, v9, v8
	v_mul_f32_e32 v10, v7, v9
	v_fmac_f32_e32 v5, v9, v4
	v_sub_f32_e32 v4, v6, v8
	v_fma_f32 v6, v9, v7, -v10
	v_fmac_f32_e32 v6, v9, v3
	v_mul_f32_e32 v8, v9, v5
	v_fmac_f32_e32 v6, v4, v7
	v_fma_f32 v9, v9, v5, -v8
	v_add_f32_e32 v11, v10, v6
	v_fmac_f32_e32 v9, v4, v5
	v_sub_f32_e32 v4, v11, v10
	v_add_f32_e32 v5, v8, v9
	v_sub_f32_e32 v4, v6, v4
	v_add_f32_e32 v6, 0x3f2aaaaa, v5
	v_sub_f32_e32 v8, v5, v8
	v_sub_f32_e32 v8, v9, v8
	v_add_f32_e32 v9, 0xbf2aaaaa, v6
	v_add_f32_e32 v8, 0x31739010, v8
	v_sub_f32_e32 v5, v5, v9
	v_subbrev_co_u32_e32 v2, vcc, 0, v2, vcc
	v_add_f32_e32 v5, v8, v5
	v_cvt_f32_i32_e32 v2, v2
	v_add_f32_e32 v8, v6, v5
	v_sub_f32_e32 v6, v6, v8
	v_mul_f32_e32 v9, v11, v8
	v_add_f32_e32 v5, v5, v6
	v_fma_f32 v6, v11, v8, -v9
	v_fmac_f32_e32 v6, v11, v5
	v_fmac_f32_e32 v6, v4, v8
	s_mov_b32 s0, 0x3f317218
	v_mul_f32_e32 v4, 0x3f317218, v2
	v_fma_f32 v5, v2, s0, -v4
	v_fmac_f32_e32 v5, 0xb102e308, v2
	v_ldexp_f32 v2, v3, 1
	v_ldexp_f32 v3, v7, 1
	v_add_f32_e32 v7, v4, v5
	v_sub_f32_e32 v4, v7, v4
	v_sub_f32_e32 v4, v5, v4
	v_add_f32_e32 v5, v9, v6
	v_sub_f32_e32 v8, v5, v9
	v_sub_f32_e32 v6, v6, v8
	;; [unrolled: 3-line block ×3, first 2 shown]
	v_add_f32_e32 v2, v2, v6
	v_add_f32_e32 v2, v2, v3
	;; [unrolled: 1-line block ×3, first 2 shown]
	v_sub_f32_e32 v5, v3, v8
	v_sub_f32_e32 v2, v2, v5
	v_add_f32_e32 v5, v7, v3
	v_sub_f32_e32 v6, v5, v7
	v_sub_f32_e32 v8, v5, v6
	v_sub_f32_e32 v7, v7, v8
	v_sub_f32_e32 v3, v3, v6
	v_add_f32_e32 v6, v4, v2
	v_add_f32_e32 v3, v3, v7
	v_sub_f32_e32 v7, v6, v4
	v_sub_f32_e32 v8, v6, v7
	;; [unrolled: 1-line block ×4, first 2 shown]
	v_add_f32_e32 v3, v6, v3
	v_add_f32_e32 v2, v2, v4
	;; [unrolled: 1-line block ×3, first 2 shown]
	v_sub_f32_e32 v5, v4, v5
	v_sub_f32_e32 v3, v3, v5
	v_add_f32_e32 v2, v2, v3
	v_add_f32_e32 v3, v4, v2
	v_sub_f32_e32 v4, v3, v4
	v_sub_f32_e32 v2, v2, v4
	v_mul_f32_e32 v4, v0, v3
	v_fma_f32 v3, v0, v3, -v4
	v_fmac_f32_e32 v3, v0, v2
	v_add_f32_e32 v2, v4, v3
	v_cmp_class_f32_e64 vcc, v4, s8
	v_sub_f32_e32 v5, v2, v4
	v_cndmask_b32_e32 v2, v2, v4, vcc
	v_mov_b32_e32 v4, 0x37000000
	v_cmp_eq_f32_e32 vcc, s1, v2
	v_cndmask_b32_e32 v4, 0, v4, vcc
	v_sub_f32_e32 v3, v3, v5
	v_sub_f32_e32 v5, v2, v4
	v_mul_f32_e32 v6, 0x3fb8aa3b, v5
	v_fma_f32 v7, v5, s2, -v6
	v_rndne_f32_e32 v8, v6
	v_fmac_f32_e32 v7, 0x32a5705f, v5
	v_sub_f32_e32 v6, v6, v8
	v_add_f32_e32 v6, v6, v7
	v_exp_f32_e32 v6, v6
	v_cvt_i32_f32_e32 v7, v8
	s_mov_b32 s0, 0x7f800000
	v_cmp_neq_f32_e64 vcc, |v2|, s0
	s_mov_b32 s0, 0xc2ce8ed0
	v_cndmask_b32_e32 v2, 0, v3, vcc
	v_ldexp_f32 v3, v6, v7
	v_cmp_ngt_f32_e32 vcc, s0, v5
	v_add_f32_e32 v2, v4, v2
	v_cndmask_b32_e32 v3, 0, v3, vcc
	v_mov_b32_e32 v4, 0x7f800000
	v_cmp_nlt_f32_e32 vcc, s1, v5
	v_cndmask_b32_e32 v3, v4, v3, vcc
	v_fma_f32 v2, v3, v2, v3
	v_cmp_class_f32_e64 vcc, v3, s8
	v_cndmask_b32_e32 v2, v2, v3, vcc
	v_trunc_f32_e32 v3, v0
	v_cmp_eq_f32_e32 vcc, v3, v0
	v_mul_f32_e32 v3, 0.5, v0
	v_trunc_f32_e32 v6, v3
	v_cmp_neq_f32_e64 s[0:1], v6, v3
	s_and_b64 s[0:1], vcc, s[0:1]
	v_cndmask_b32_e64 v3, 1.0, v1, s[0:1]
	v_mov_b32_e32 v5, 0x7fc00000
	v_bfi_b32 v2, s9, v2, v3
	v_cmp_neq_f32_e64 s[2:3], v0, |v0|
	v_cmp_lt_f32_e64 s[4:5], |v1|, 1.0
	v_cndmask_b32_e32 v3, v5, v2, vcc
	v_cmp_gt_f32_e32 vcc, 0, v1
	s_xor_b64 s[2:3], s[2:3], s[4:5]
	v_cndmask_b32_e32 v2, v2, v3, vcc
	v_cndmask_b32_e64 v3, v4, 0, s[2:3]
	v_cmp_neq_f32_e64 vcc, |v1|, 1.0
	v_cndmask_b32_e32 v3, 1.0, v3, vcc
	v_cmp_class_f32_e64 vcc, v0, s8
	v_cndmask_b32_e32 v2, v2, v3, vcc
	v_cmp_eq_f32_e32 vcc, 0, v1
	v_cmp_gt_f32_e64 s[2:3], 0, v0
	s_xor_b64 s[2:3], s[2:3], vcc
	v_cmp_class_f32_e64 s[4:5], v1, s8
	v_cndmask_b32_e64 v3, v4, 0, s[2:3]
	v_cndmask_b32_e64 v4, 0, v1, s[0:1]
	v_bfi_b32 v3, s9, v3, v4
	s_or_b64 vcc, vcc, s[4:5]
	s_lshl_b64 s[0:1], s[6:7], 2
	v_cndmask_b32_e32 v2, v2, v3, vcc
	v_cmp_o_f32_e32 vcc, v1, v0
	s_add_u32 s0, s16, s0
	v_cndmask_b32_e32 v0, v5, v2, vcc
	s_addc_u32 s1, s17, s1
	v_mov_b32_e32 v1, 0
	global_store_dword v1, v0, s[0:1]
	s_endpgm
.LBB5_19:
                                        ; implicit-def: $sgpr2_sgpr3
	s_branch .LBB5_2
.LBB5_20:
                                        ; implicit-def: $sgpr22_sgpr23
	s_branch .LBB5_5
	.section	.rodata,"a",@progbits
	.p2align	6, 0x0
	.amdhsa_kernel _ZN2at6native12_GLOBAL__N_122cdist_kernel_cuda_implIfNS1_5distsIfE1pEEEvPT_PKS6_S9_S6_lllll
		.amdhsa_group_segment_fixed_size 1024
		.amdhsa_private_segment_fixed_size 0
		.amdhsa_kernarg_size 328
		.amdhsa_user_sgpr_count 6
		.amdhsa_user_sgpr_private_segment_buffer 1
		.amdhsa_user_sgpr_dispatch_ptr 0
		.amdhsa_user_sgpr_queue_ptr 0
		.amdhsa_user_sgpr_kernarg_segment_ptr 1
		.amdhsa_user_sgpr_dispatch_id 0
		.amdhsa_user_sgpr_flat_scratch_init 0
		.amdhsa_user_sgpr_private_segment_size 0
		.amdhsa_uses_dynamic_stack 0
		.amdhsa_system_sgpr_private_segment_wavefront_offset 0
		.amdhsa_system_sgpr_workgroup_id_x 1
		.amdhsa_system_sgpr_workgroup_id_y 0
		.amdhsa_system_sgpr_workgroup_id_z 0
		.amdhsa_system_sgpr_workgroup_info 0
		.amdhsa_system_vgpr_workitem_id 0
		.amdhsa_next_free_vgpr 24
		.amdhsa_next_free_sgpr 37
		.amdhsa_reserve_vcc 1
		.amdhsa_reserve_flat_scratch 0
		.amdhsa_float_round_mode_32 0
		.amdhsa_float_round_mode_16_64 0
		.amdhsa_float_denorm_mode_32 3
		.amdhsa_float_denorm_mode_16_64 3
		.amdhsa_dx10_clamp 1
		.amdhsa_ieee_mode 1
		.amdhsa_fp16_overflow 0
		.amdhsa_exception_fp_ieee_invalid_op 0
		.amdhsa_exception_fp_denorm_src 0
		.amdhsa_exception_fp_ieee_div_zero 0
		.amdhsa_exception_fp_ieee_overflow 0
		.amdhsa_exception_fp_ieee_underflow 0
		.amdhsa_exception_fp_ieee_inexact 0
		.amdhsa_exception_int_div_zero 0
	.end_amdhsa_kernel
	.section	.text._ZN2at6native12_GLOBAL__N_122cdist_kernel_cuda_implIfNS1_5distsIfE1pEEEvPT_PKS6_S9_S6_lllll,"axG",@progbits,_ZN2at6native12_GLOBAL__N_122cdist_kernel_cuda_implIfNS1_5distsIfE1pEEEvPT_PKS6_S9_S6_lllll,comdat
.Lfunc_end5:
	.size	_ZN2at6native12_GLOBAL__N_122cdist_kernel_cuda_implIfNS1_5distsIfE1pEEEvPT_PKS6_S9_S6_lllll, .Lfunc_end5-_ZN2at6native12_GLOBAL__N_122cdist_kernel_cuda_implIfNS1_5distsIfE1pEEEvPT_PKS6_S9_S6_lllll
                                        ; -- End function
	.set _ZN2at6native12_GLOBAL__N_122cdist_kernel_cuda_implIfNS1_5distsIfE1pEEEvPT_PKS6_S9_S6_lllll.num_vgpr, 24
	.set _ZN2at6native12_GLOBAL__N_122cdist_kernel_cuda_implIfNS1_5distsIfE1pEEEvPT_PKS6_S9_S6_lllll.num_agpr, 0
	.set _ZN2at6native12_GLOBAL__N_122cdist_kernel_cuda_implIfNS1_5distsIfE1pEEEvPT_PKS6_S9_S6_lllll.numbered_sgpr, 37
	.set _ZN2at6native12_GLOBAL__N_122cdist_kernel_cuda_implIfNS1_5distsIfE1pEEEvPT_PKS6_S9_S6_lllll.num_named_barrier, 0
	.set _ZN2at6native12_GLOBAL__N_122cdist_kernel_cuda_implIfNS1_5distsIfE1pEEEvPT_PKS6_S9_S6_lllll.private_seg_size, 0
	.set _ZN2at6native12_GLOBAL__N_122cdist_kernel_cuda_implIfNS1_5distsIfE1pEEEvPT_PKS6_S9_S6_lllll.uses_vcc, 1
	.set _ZN2at6native12_GLOBAL__N_122cdist_kernel_cuda_implIfNS1_5distsIfE1pEEEvPT_PKS6_S9_S6_lllll.uses_flat_scratch, 0
	.set _ZN2at6native12_GLOBAL__N_122cdist_kernel_cuda_implIfNS1_5distsIfE1pEEEvPT_PKS6_S9_S6_lllll.has_dyn_sized_stack, 0
	.set _ZN2at6native12_GLOBAL__N_122cdist_kernel_cuda_implIfNS1_5distsIfE1pEEEvPT_PKS6_S9_S6_lllll.has_recursion, 0
	.set _ZN2at6native12_GLOBAL__N_122cdist_kernel_cuda_implIfNS1_5distsIfE1pEEEvPT_PKS6_S9_S6_lllll.has_indirect_call, 0
	.section	.AMDGPU.csdata,"",@progbits
; Kernel info:
; codeLenInByte = 4124
; TotalNumSgprs: 41
; NumVgprs: 24
; ScratchSize: 0
; MemoryBound: 0
; FloatMode: 240
; IeeeMode: 1
; LDSByteSize: 1024 bytes/workgroup (compile time only)
; SGPRBlocks: 5
; VGPRBlocks: 5
; NumSGPRsForWavesPerEU: 41
; NumVGPRsForWavesPerEU: 24
; Occupancy: 10
; WaveLimiterHint : 0
; COMPUTE_PGM_RSRC2:SCRATCH_EN: 0
; COMPUTE_PGM_RSRC2:USER_SGPR: 6
; COMPUTE_PGM_RSRC2:TRAP_HANDLER: 0
; COMPUTE_PGM_RSRC2:TGID_X_EN: 1
; COMPUTE_PGM_RSRC2:TGID_Y_EN: 0
; COMPUTE_PGM_RSRC2:TGID_Z_EN: 0
; COMPUTE_PGM_RSRC2:TIDIG_COMP_CNT: 0
	.section	.text._ZN2at6native12_GLOBAL__N_122cdist_kernel_cuda_implIfNS1_5distsIfE4zeroEEEvPT_PKS6_S9_S6_lllll,"axG",@progbits,_ZN2at6native12_GLOBAL__N_122cdist_kernel_cuda_implIfNS1_5distsIfE4zeroEEEvPT_PKS6_S9_S6_lllll,comdat
	.globl	_ZN2at6native12_GLOBAL__N_122cdist_kernel_cuda_implIfNS1_5distsIfE4zeroEEEvPT_PKS6_S9_S6_lllll ; -- Begin function _ZN2at6native12_GLOBAL__N_122cdist_kernel_cuda_implIfNS1_5distsIfE4zeroEEEvPT_PKS6_S9_S6_lllll
	.p2align	8
	.type	_ZN2at6native12_GLOBAL__N_122cdist_kernel_cuda_implIfNS1_5distsIfE4zeroEEEvPT_PKS6_S9_S6_lllll,@function
_ZN2at6native12_GLOBAL__N_122cdist_kernel_cuda_implIfNS1_5distsIfE4zeroEEEvPT_PKS6_S9_S6_lllll: ; @_ZN2at6native12_GLOBAL__N_122cdist_kernel_cuda_implIfNS1_5distsIfE4zeroEEEvPT_PKS6_S9_S6_lllll
; %bb.0:
	s_load_dwordx8 s[8:15], s[4:5], 0x20
	s_load_dwordx2 s[0:1], s[4:5], 0x40
	s_mov_b32 s7, 0
	s_mov_b32 s2, s7
	s_waitcnt lgkmcnt(0)
	s_mov_b32 s3, s13
	s_cmp_lg_u64 s[2:3], 0
	s_cbranch_scc0 .LBB6_23
; %bb.1:
	s_ashr_i32 s2, s13, 31
	s_add_u32 s16, s12, s2
	s_mov_b32 s3, s2
	s_addc_u32 s17, s13, s2
	s_xor_b64 s[18:19], s[16:17], s[2:3]
	v_cvt_f32_u32_e32 v1, s18
	v_cvt_f32_u32_e32 v2, s19
	s_sub_u32 s22, 0, s18
	s_subb_u32 s23, 0, s19
	v_madmk_f32 v1, v2, 0x4f800000, v1
	v_rcp_f32_e32 v1, v1
	v_mul_f32_e32 v1, 0x5f7ffffc, v1
	v_mul_f32_e32 v2, 0x2f800000, v1
	v_trunc_f32_e32 v2, v2
	v_madmk_f32 v1, v2, 0xcf800000, v1
	v_cvt_u32_f32_e32 v2, v2
	v_cvt_u32_f32_e32 v1, v1
	v_readfirstlane_b32 s24, v2
	v_readfirstlane_b32 s20, v1
	s_mul_i32 s21, s22, s24
	s_mul_hi_u32 s26, s22, s20
	s_mul_i32 s25, s23, s20
	s_add_i32 s21, s26, s21
	s_add_i32 s21, s21, s25
	s_mul_i32 s27, s22, s20
	s_mul_i32 s26, s20, s21
	s_mul_hi_u32 s28, s20, s27
	s_mul_hi_u32 s25, s20, s21
	s_add_u32 s26, s28, s26
	s_addc_u32 s25, 0, s25
	s_mul_hi_u32 s29, s24, s27
	s_mul_i32 s27, s24, s27
	s_add_u32 s26, s26, s27
	s_mul_hi_u32 s28, s24, s21
	s_addc_u32 s25, s25, s29
	s_addc_u32 s26, s28, 0
	s_mul_i32 s21, s24, s21
	s_add_u32 s21, s25, s21
	s_addc_u32 s25, 0, s26
	s_add_u32 s26, s20, s21
	s_cselect_b64 s[20:21], -1, 0
	s_cmp_lg_u64 s[20:21], 0
	s_addc_u32 s24, s24, s25
	s_mul_i32 s20, s22, s24
	s_mul_hi_u32 s21, s22, s26
	s_add_i32 s20, s21, s20
	s_mul_i32 s23, s23, s26
	s_add_i32 s20, s20, s23
	s_mul_i32 s22, s22, s26
	s_mul_hi_u32 s23, s24, s22
	s_mul_i32 s25, s24, s22
	s_mul_i32 s28, s26, s20
	s_mul_hi_u32 s22, s26, s22
	s_mul_hi_u32 s27, s26, s20
	s_add_u32 s22, s22, s28
	s_addc_u32 s27, 0, s27
	s_add_u32 s22, s22, s25
	s_mul_hi_u32 s21, s24, s20
	s_addc_u32 s22, s27, s23
	s_addc_u32 s21, s21, 0
	s_mul_i32 s20, s24, s20
	s_add_u32 s20, s22, s20
	s_addc_u32 s22, 0, s21
	s_add_u32 s23, s26, s20
	s_cselect_b64 s[20:21], -1, 0
	s_cmp_lg_u64 s[20:21], 0
	s_addc_u32 s22, s24, s22
	s_add_u32 s20, s6, 0
	s_addc_u32 s21, 0, 0
	s_xor_b64 s[20:21], s[20:21], 0
	s_mul_i32 s25, s20, s22
	s_mul_hi_u32 s26, s20, s23
	s_mul_hi_u32 s24, s20, s22
	s_add_u32 s25, s26, s25
	s_addc_u32 s24, 0, s24
	s_mul_hi_u32 s27, s21, s23
	s_mul_i32 s23, s21, s23
	s_add_u32 s23, s25, s23
	s_mul_hi_u32 s26, s21, s22
	s_addc_u32 s23, s24, s27
	s_addc_u32 s24, s26, 0
	s_mul_i32 s22, s21, s22
	s_add_u32 s26, s23, s22
	s_addc_u32 s27, 0, s24
	s_mul_i32 s22, s18, s27
	s_mul_hi_u32 s23, s18, s26
	s_add_i32 s22, s23, s22
	s_mul_i32 s23, s19, s26
	s_add_i32 s28, s22, s23
	s_sub_i32 s24, s21, s28
	s_mul_i32 s22, s18, s26
	s_sub_u32 s20, s20, s22
	s_cselect_b64 s[22:23], -1, 0
	s_cmp_lg_u64 s[22:23], 0
	s_subb_u32 s29, s24, s19
	s_sub_u32 s30, s20, s18
	s_cselect_b64 s[24:25], -1, 0
	s_cmp_lg_u64 s[24:25], 0
	s_subb_u32 s24, s29, 0
	s_cmp_ge_u32 s24, s19
	s_cselect_b32 s25, -1, 0
	s_cmp_ge_u32 s30, s18
	s_cselect_b32 s29, -1, 0
	s_cmp_eq_u32 s24, s19
	s_cselect_b32 s24, s29, s25
	s_add_u32 s25, s26, 1
	s_addc_u32 s29, s27, 0
	s_add_u32 s30, s26, 2
	s_addc_u32 s31, s27, 0
	s_cmp_lg_u32 s24, 0
	s_cselect_b32 s24, s30, s25
	s_cselect_b32 s25, s31, s29
	s_cmp_lg_u64 s[22:23], 0
	s_subb_u32 s21, s21, s28
	s_cmp_ge_u32 s21, s19
	s_cselect_b32 s22, -1, 0
	s_cmp_ge_u32 s20, s18
	s_cselect_b32 s18, -1, 0
	s_cmp_eq_u32 s21, s19
	s_cselect_b32 s18, s18, s22
	s_cmp_lg_u32 s18, 0
	s_cselect_b32 s19, s25, s27
	s_cselect_b32 s18, s24, s26
	s_xor_b64 s[2:3], 0, s[2:3]
	s_xor_b64 s[18:19], s[18:19], s[2:3]
	s_sub_u32 s2, s18, s2
	s_subb_u32 s3, s19, s3
	s_cbranch_execnz .LBB6_3
.LBB6_2:
	v_cvt_f32_u32_e32 v1, s12
	s_sub_i32 s2, 0, s12
	s_mov_b32 s3, 0
	v_rcp_iflag_f32_e32 v1, v1
	v_mul_f32_e32 v1, 0x4f7ffffe, v1
	v_cvt_u32_f32_e32 v1, v1
	v_readfirstlane_b32 s16, v1
	s_mul_i32 s2, s2, s16
	s_mul_hi_u32 s2, s16, s2
	s_add_i32 s16, s16, s2
	s_mul_hi_u32 s2, s6, s16
	s_mul_i32 s17, s2, s12
	s_sub_i32 s17, s6, s17
	s_add_i32 s16, s2, 1
	s_sub_i32 s18, s17, s12
	s_cmp_ge_u32 s17, s12
	s_cselect_b32 s2, s16, s2
	s_cselect_b32 s17, s18, s17
	s_add_i32 s16, s2, 1
	s_cmp_ge_u32 s17, s12
	s_cselect_b32 s2, s16, s2
.LBB6_3:
	s_mul_i32 s13, s2, s13
	s_mul_hi_u32 s16, s2, s12
	s_add_i32 s13, s16, s13
	s_mul_i32 s16, s3, s12
	s_add_i32 s13, s13, s16
	s_mul_i32 s12, s2, s12
	s_sub_u32 s12, s6, s12
	s_subb_u32 s13, 0, s13
	s_or_b64 s[16:17], s[12:13], s[8:9]
	s_mov_b32 s16, 0
	s_cmp_lg_u64 s[16:17], 0
	s_cbranch_scc0 .LBB6_24
; %bb.4:
	s_ashr_i32 s16, s9, 31
	s_add_u32 s18, s8, s16
	s_mov_b32 s17, s16
	s_addc_u32 s19, s9, s16
	s_xor_b64 s[20:21], s[18:19], s[16:17]
	v_cvt_f32_u32_e32 v1, s20
	v_cvt_f32_u32_e32 v2, s21
	s_sub_u32 s24, 0, s20
	s_subb_u32 s25, 0, s21
	v_madmk_f32 v1, v2, 0x4f800000, v1
	v_rcp_f32_e32 v1, v1
	v_mul_f32_e32 v1, 0x5f7ffffc, v1
	v_mul_f32_e32 v2, 0x2f800000, v1
	v_trunc_f32_e32 v2, v2
	v_madmk_f32 v1, v2, 0xcf800000, v1
	v_cvt_u32_f32_e32 v2, v2
	v_cvt_u32_f32_e32 v1, v1
	v_readfirstlane_b32 s26, v2
	v_readfirstlane_b32 s22, v1
	s_mul_i32 s23, s24, s26
	s_mul_hi_u32 s28, s24, s22
	s_mul_i32 s27, s25, s22
	s_add_i32 s23, s28, s23
	s_add_i32 s23, s23, s27
	s_mul_i32 s29, s24, s22
	s_mul_i32 s28, s22, s23
	s_mul_hi_u32 s30, s22, s29
	s_mul_hi_u32 s27, s22, s23
	s_add_u32 s28, s30, s28
	s_addc_u32 s27, 0, s27
	s_mul_hi_u32 s31, s26, s29
	s_mul_i32 s29, s26, s29
	s_add_u32 s28, s28, s29
	s_mul_hi_u32 s30, s26, s23
	s_addc_u32 s27, s27, s31
	s_addc_u32 s28, s30, 0
	s_mul_i32 s23, s26, s23
	s_add_u32 s23, s27, s23
	s_addc_u32 s27, 0, s28
	s_add_u32 s28, s22, s23
	s_cselect_b64 s[22:23], -1, 0
	s_cmp_lg_u64 s[22:23], 0
	s_addc_u32 s26, s26, s27
	s_mul_i32 s22, s24, s26
	s_mul_hi_u32 s23, s24, s28
	s_add_i32 s22, s23, s22
	s_mul_i32 s25, s25, s28
	s_add_i32 s22, s22, s25
	s_mul_i32 s24, s24, s28
	s_mul_hi_u32 s25, s26, s24
	s_mul_i32 s27, s26, s24
	s_mul_i32 s30, s28, s22
	s_mul_hi_u32 s24, s28, s24
	s_mul_hi_u32 s29, s28, s22
	s_add_u32 s24, s24, s30
	s_addc_u32 s29, 0, s29
	s_add_u32 s24, s24, s27
	s_mul_hi_u32 s23, s26, s22
	s_addc_u32 s24, s29, s25
	s_addc_u32 s23, s23, 0
	s_mul_i32 s22, s26, s22
	s_add_u32 s22, s24, s22
	s_addc_u32 s24, 0, s23
	s_add_u32 s27, s28, s22
	s_cselect_b64 s[22:23], -1, 0
	s_cmp_lg_u64 s[22:23], 0
	s_addc_u32 s26, s26, s24
	s_ashr_i32 s22, s13, 31
	s_add_u32 s24, s12, s22
	s_mov_b32 s23, s22
	s_addc_u32 s25, s13, s22
	s_xor_b64 s[24:25], s[24:25], s[22:23]
	s_mul_i32 s29, s24, s26
	s_mul_hi_u32 s30, s24, s27
	s_mul_hi_u32 s28, s24, s26
	s_add_u32 s29, s30, s29
	s_addc_u32 s28, 0, s28
	s_mul_hi_u32 s31, s25, s27
	s_mul_i32 s27, s25, s27
	s_add_u32 s27, s29, s27
	s_mul_hi_u32 s30, s25, s26
	s_addc_u32 s27, s28, s31
	s_addc_u32 s28, s30, 0
	s_mul_i32 s26, s25, s26
	s_add_u32 s30, s27, s26
	s_addc_u32 s31, 0, s28
	s_mul_i32 s26, s20, s31
	s_mul_hi_u32 s27, s20, s30
	s_add_i32 s26, s27, s26
	s_mul_i32 s27, s21, s30
	s_add_i32 s33, s26, s27
	s_sub_i32 s28, s25, s33
	s_mul_i32 s26, s20, s30
	s_sub_u32 s24, s24, s26
	s_cselect_b64 s[26:27], -1, 0
	s_cmp_lg_u64 s[26:27], 0
	s_subb_u32 s34, s28, s21
	s_sub_u32 s35, s24, s20
	s_cselect_b64 s[28:29], -1, 0
	s_cmp_lg_u64 s[28:29], 0
	s_subb_u32 s28, s34, 0
	s_cmp_ge_u32 s28, s21
	s_cselect_b32 s29, -1, 0
	s_cmp_ge_u32 s35, s20
	s_cselect_b32 s34, -1, 0
	s_cmp_eq_u32 s28, s21
	s_cselect_b32 s28, s34, s29
	s_add_u32 s29, s30, 1
	s_addc_u32 s34, s31, 0
	s_add_u32 s35, s30, 2
	s_addc_u32 s36, s31, 0
	s_cmp_lg_u32 s28, 0
	s_cselect_b32 s28, s35, s29
	s_cselect_b32 s29, s36, s34
	s_cmp_lg_u64 s[26:27], 0
	s_subb_u32 s25, s25, s33
	s_cmp_ge_u32 s25, s21
	s_cselect_b32 s26, -1, 0
	s_cmp_ge_u32 s24, s20
	s_cselect_b32 s20, -1, 0
	s_cmp_eq_u32 s25, s21
	s_cselect_b32 s20, s20, s26
	s_cmp_lg_u32 s20, 0
	s_cselect_b32 s21, s29, s31
	s_cselect_b32 s20, s28, s30
	s_xor_b64 s[16:17], s[22:23], s[16:17]
	s_xor_b64 s[20:21], s[20:21], s[16:17]
	s_sub_u32 s20, s20, s16
	s_subb_u32 s21, s21, s17
	s_cbranch_execnz .LBB6_6
.LBB6_5:
	v_cvt_f32_u32_e32 v1, s8
	s_sub_i32 s16, 0, s8
	s_mov_b32 s21, 0
	v_rcp_iflag_f32_e32 v1, v1
	v_mul_f32_e32 v1, 0x4f7ffffe, v1
	v_cvt_u32_f32_e32 v1, v1
	v_readfirstlane_b32 s17, v1
	s_mul_i32 s16, s16, s17
	s_mul_hi_u32 s16, s17, s16
	s_add_i32 s17, s17, s16
	s_mul_hi_u32 s16, s12, s17
	s_mul_i32 s18, s16, s8
	s_sub_i32 s18, s12, s18
	s_add_i32 s17, s16, 1
	s_sub_i32 s19, s18, s8
	s_cmp_ge_u32 s18, s8
	s_cselect_b32 s16, s17, s16
	s_cselect_b32 s18, s19, s18
	s_add_i32 s17, s16, 1
	s_cmp_ge_u32 s18, s8
	s_cselect_b32 s20, s17, s16
.LBB6_6:
	s_load_dwordx4 s[16:19], s[4:5], 0x0
	s_load_dwordx2 s[22:23], s[4:5], 0x10
	s_load_dword s24, s[4:5], 0x54
	v_mov_b32_e32 v1, 0
	v_cmp_gt_i64_e32 vcc, s[10:11], v[0:1]
	s_and_saveexec_b64 s[4:5], vcc
	s_cbranch_execz .LBB6_14
; %bb.7:
	s_mul_i32 s15, s2, s15
	s_mul_hi_u32 s25, s2, s14
	s_add_i32 s15, s25, s15
	s_mul_i32 s25, s3, s14
	s_add_i32 s15, s15, s25
	s_mul_i32 s14, s2, s14
	s_lshl_b64 s[14:15], s[14:15], 2
	s_waitcnt lgkmcnt(0)
	s_add_u32 s18, s18, s14
	s_addc_u32 s19, s19, s15
	s_mul_i32 s14, s20, s11
	s_mul_hi_u32 s15, s20, s10
	s_add_i32 s14, s15, s14
	s_mul_i32 s15, s21, s10
	s_add_i32 s15, s14, s15
	s_mul_i32 s14, s20, s10
	s_lshl_b64 s[14:15], s[14:15], 2
	s_add_u32 s18, s18, s14
	s_addc_u32 s19, s19, s15
	s_lshl_b64 s[14:15], s[10:11], 2
	s_add_u32 s14, s18, s14
	s_mul_i32 s1, s2, s1
	s_mul_hi_u32 s25, s2, s0
	s_addc_u32 s15, s19, s15
	s_add_i32 s1, s25, s1
	s_mul_i32 s3, s3, s0
	s_add_i32 s1, s1, s3
	s_mul_i32 s0, s2, s0
	s_lshl_b64 s[0:1], s[0:1], 2
	s_add_u32 s2, s22, s0
	s_addc_u32 s3, s23, s1
	s_mul_i32 s0, s20, s9
	s_mul_hi_u32 s1, s20, s8
	s_add_i32 s0, s1, s0
	s_mul_i32 s1, s21, s8
	s_add_i32 s0, s0, s1
	s_mul_i32 s1, s20, s8
	s_sub_u32 s8, s12, s1
	s_subb_u32 s0, s13, s0
	s_mul_i32 s1, s8, s11
	s_mul_hi_u32 s9, s8, s10
	s_add_i32 s1, s9, s1
	s_mul_i32 s0, s0, s10
	s_add_i32 s1, s1, s0
	s_mul_i32 s0, s8, s10
	s_lshl_b64 s[0:1], s[0:1], 2
	v_lshlrev_b32_e32 v4, 2, v0
	s_add_u32 s10, s2, s0
	v_mov_b32_e32 v5, 0
	v_mov_b32_e32 v1, s19
	v_add_co_u32_e32 v2, vcc, s18, v4
	s_addc_u32 s0, s3, s1
	s_and_b32 s1, s24, 0xffff
	v_addc_co_u32_e32 v3, vcc, 0, v1, vcc
	s_lshl_b32 s11, s1, 2
	s_mov_b64 s[2:3], 0
	v_mov_b32_e32 v6, s0
	v_mov_b32_e32 v7, s19
	s_lshl_b32 s12, s1, 2
	v_mov_b32_e32 v8, v5
	s_branch .LBB6_10
.LBB6_8:                                ;   in Loop: Header=BB6_10 Depth=1
	s_or_b64 exec, exec, s[8:9]
	v_mov_b32_e32 v1, v8
.LBB6_9:                                ;   in Loop: Header=BB6_10 Depth=1
	s_or_b64 exec, exec, s[0:1]
	v_add_co_u32_e32 v2, vcc, s12, v2
	v_addc_co_u32_e32 v3, vcc, 0, v3, vcc
	v_cmp_le_u64_e32 vcc, s[14:15], v[2:3]
	v_add_co_u32_e64 v4, s[0:1], s11, v4
	v_addc_co_u32_e64 v5, s[0:1], 0, v5, s[0:1]
	s_or_b64 s[2:3], vcc, s[2:3]
	v_mov_b32_e32 v8, v1
	s_andn2_b64 exec, exec, s[2:3]
	s_cbranch_execz .LBB6_13
.LBB6_10:                               ; =>This Inner Loop Header: Depth=1
	v_add_co_u32_e32 v9, vcc, s10, v4
	v_addc_co_u32_e32 v10, vcc, v6, v5, vcc
	v_add_co_u32_e32 v11, vcc, s18, v4
	v_addc_co_u32_e32 v12, vcc, v7, v5, vcc
	global_load_dword v1, v[11:12], off
	global_load_dword v13, v[9:10], off
	s_waitcnt vmcnt(0)
	v_sub_f32_e32 v9, v1, v13
	v_and_b32_e32 v1, 0x7fffffff, v9
	v_cmp_o_f32_e32 vcc, v9, v9
	s_and_saveexec_b64 s[0:1], vcc
	s_cbranch_execz .LBB6_9
; %bb.11:                               ;   in Loop: Header=BB6_10 Depth=1
	v_cmp_neq_f32_e32 vcc, 0, v9
	s_and_saveexec_b64 s[8:9], vcc
	s_cbranch_execz .LBB6_8
; %bb.12:                               ;   in Loop: Header=BB6_10 Depth=1
	v_add_f32_e32 v8, 1.0, v8
	s_branch .LBB6_8
.LBB6_13:
	s_or_b64 exec, exec, s[2:3]
.LBB6_14:
	s_or_b64 exec, exec, s[4:5]
	v_mbcnt_lo_u32_b32 v2, -1, 0
	v_mbcnt_hi_u32_b32 v6, -1, v2
	v_mov_b32_e32 v2, 0x80
	v_lshl_or_b32 v2, v6, 2, v2
	ds_bpermute_b32 v3, v2, v1
	v_and_b32_e32 v7, 63, v6
	v_cmp_gt_u32_e32 vcc, 48, v7
	v_cndmask_b32_e64 v4, 0, 16, vcc
	v_cmp_gt_u32_e32 vcc, 56, v7
	s_waitcnt lgkmcnt(0)
	v_add_f32_e32 v5, v1, v3
	v_add_lshl_u32 v1, v4, v6, 2
	ds_bpermute_b32 v4, v1, v5
	v_cndmask_b32_e64 v3, 0, 8, vcc
	v_add_lshl_u32 v3, v3, v6, 2
	v_cmp_gt_u32_e32 vcc, 60, v7
	s_waitcnt lgkmcnt(0)
	v_add_f32_e32 v5, v5, v4
	ds_bpermute_b32 v8, v3, v5
	v_cndmask_b32_e64 v4, 0, 4, vcc
	v_add_lshl_u32 v4, v4, v6, 2
	v_cmp_gt_u32_e32 vcc, 62, v7
	s_waitcnt lgkmcnt(0)
	s_barrier
	v_add_f32_e32 v8, v5, v8
	ds_bpermute_b32 v9, v4, v8
	v_cndmask_b32_e64 v5, 0, 2, vcc
	v_add_lshl_u32 v5, v5, v6, 2
	v_cmp_ne_u32_e32 vcc, 63, v7
	v_addc_co_u32_e32 v6, vcc, 0, v6, vcc
	s_waitcnt lgkmcnt(0)
	v_add_f32_e32 v9, v8, v9
	ds_bpermute_b32 v10, v5, v9
	v_lshlrev_b32_e32 v6, 2, v6
	v_and_b32_e32 v8, 63, v0
	v_cmp_eq_u32_e32 vcc, 0, v8
	s_waitcnt lgkmcnt(0)
	v_add_f32_e32 v7, v9, v10
	ds_bpermute_b32 v9, v6, v7
	s_and_saveexec_b64 s[0:1], vcc
	s_cbranch_execz .LBB6_16
; %bb.15:
	s_waitcnt lgkmcnt(0)
	v_add_f32_e32 v7, v7, v9
	v_lshrrev_b32_e32 v9, 4, v0
	ds_write_b32 v9, v7
.LBB6_16:
	s_or_b64 exec, exec, s[0:1]
	s_and_b32 s0, 0xffff, s24
	s_lshr_b32 s0, s0, 6
	v_cmp_gt_u32_e32 vcc, s0, v0
	v_mov_b32_e32 v7, 0
	s_waitcnt lgkmcnt(0)
	s_barrier
	s_and_saveexec_b64 s[0:1], vcc
	s_cbranch_execnz .LBB6_20
; %bb.17:
	s_or_b64 exec, exec, s[0:1]
	v_cmp_gt_u32_e32 vcc, 64, v0
	s_and_saveexec_b64 s[0:1], vcc
	s_cbranch_execnz .LBB6_21
.LBB6_18:
	s_or_b64 exec, exec, s[0:1]
	v_cmp_eq_u32_e32 vcc, 0, v0
	s_and_saveexec_b64 s[0:1], vcc
	s_cbranch_execnz .LBB6_22
.LBB6_19:
	s_endpgm
.LBB6_20:
	v_lshlrev_b32_e32 v7, 2, v8
	ds_read_b32 v7, v7
	s_or_b64 exec, exec, s[0:1]
	v_cmp_gt_u32_e32 vcc, 64, v0
	s_and_saveexec_b64 s[0:1], vcc
	s_cbranch_execz .LBB6_18
.LBB6_21:
	s_waitcnt lgkmcnt(0)
	ds_bpermute_b32 v2, v2, v7
	s_waitcnt lgkmcnt(0)
	v_add_f32_e32 v2, v7, v2
	ds_bpermute_b32 v1, v1, v2
	s_waitcnt lgkmcnt(0)
	v_add_f32_e32 v1, v2, v1
	;; [unrolled: 3-line block ×6, first 2 shown]
	s_or_b64 exec, exec, s[0:1]
	v_cmp_eq_u32_e32 vcc, 0, v0
	s_and_saveexec_b64 s[0:1], vcc
	s_cbranch_execz .LBB6_19
.LBB6_22:
	s_lshl_b64 s[0:1], s[6:7], 2
	s_add_u32 s0, s16, s0
	s_addc_u32 s1, s17, s1
	v_mov_b32_e32 v0, 0
	s_waitcnt lgkmcnt(0)
	global_store_dword v0, v7, s[0:1]
	s_endpgm
.LBB6_23:
                                        ; implicit-def: $sgpr2_sgpr3
	s_branch .LBB6_2
.LBB6_24:
                                        ; implicit-def: $sgpr20_sgpr21
	s_branch .LBB6_5
	.section	.rodata,"a",@progbits
	.p2align	6, 0x0
	.amdhsa_kernel _ZN2at6native12_GLOBAL__N_122cdist_kernel_cuda_implIfNS1_5distsIfE4zeroEEEvPT_PKS6_S9_S6_lllll
		.amdhsa_group_segment_fixed_size 1024
		.amdhsa_private_segment_fixed_size 0
		.amdhsa_kernarg_size 328
		.amdhsa_user_sgpr_count 6
		.amdhsa_user_sgpr_private_segment_buffer 1
		.amdhsa_user_sgpr_dispatch_ptr 0
		.amdhsa_user_sgpr_queue_ptr 0
		.amdhsa_user_sgpr_kernarg_segment_ptr 1
		.amdhsa_user_sgpr_dispatch_id 0
		.amdhsa_user_sgpr_flat_scratch_init 0
		.amdhsa_user_sgpr_private_segment_size 0
		.amdhsa_uses_dynamic_stack 0
		.amdhsa_system_sgpr_private_segment_wavefront_offset 0
		.amdhsa_system_sgpr_workgroup_id_x 1
		.amdhsa_system_sgpr_workgroup_id_y 0
		.amdhsa_system_sgpr_workgroup_id_z 0
		.amdhsa_system_sgpr_workgroup_info 0
		.amdhsa_system_vgpr_workitem_id 0
		.amdhsa_next_free_vgpr 14
		.amdhsa_next_free_sgpr 37
		.amdhsa_reserve_vcc 1
		.amdhsa_reserve_flat_scratch 0
		.amdhsa_float_round_mode_32 0
		.amdhsa_float_round_mode_16_64 0
		.amdhsa_float_denorm_mode_32 3
		.amdhsa_float_denorm_mode_16_64 3
		.amdhsa_dx10_clamp 1
		.amdhsa_ieee_mode 1
		.amdhsa_fp16_overflow 0
		.amdhsa_exception_fp_ieee_invalid_op 0
		.amdhsa_exception_fp_denorm_src 0
		.amdhsa_exception_fp_ieee_div_zero 0
		.amdhsa_exception_fp_ieee_overflow 0
		.amdhsa_exception_fp_ieee_underflow 0
		.amdhsa_exception_fp_ieee_inexact 0
		.amdhsa_exception_int_div_zero 0
	.end_amdhsa_kernel
	.section	.text._ZN2at6native12_GLOBAL__N_122cdist_kernel_cuda_implIfNS1_5distsIfE4zeroEEEvPT_PKS6_S9_S6_lllll,"axG",@progbits,_ZN2at6native12_GLOBAL__N_122cdist_kernel_cuda_implIfNS1_5distsIfE4zeroEEEvPT_PKS6_S9_S6_lllll,comdat
.Lfunc_end6:
	.size	_ZN2at6native12_GLOBAL__N_122cdist_kernel_cuda_implIfNS1_5distsIfE4zeroEEEvPT_PKS6_S9_S6_lllll, .Lfunc_end6-_ZN2at6native12_GLOBAL__N_122cdist_kernel_cuda_implIfNS1_5distsIfE4zeroEEEvPT_PKS6_S9_S6_lllll
                                        ; -- End function
	.set _ZN2at6native12_GLOBAL__N_122cdist_kernel_cuda_implIfNS1_5distsIfE4zeroEEEvPT_PKS6_S9_S6_lllll.num_vgpr, 14
	.set _ZN2at6native12_GLOBAL__N_122cdist_kernel_cuda_implIfNS1_5distsIfE4zeroEEEvPT_PKS6_S9_S6_lllll.num_agpr, 0
	.set _ZN2at6native12_GLOBAL__N_122cdist_kernel_cuda_implIfNS1_5distsIfE4zeroEEEvPT_PKS6_S9_S6_lllll.numbered_sgpr, 37
	.set _ZN2at6native12_GLOBAL__N_122cdist_kernel_cuda_implIfNS1_5distsIfE4zeroEEEvPT_PKS6_S9_S6_lllll.num_named_barrier, 0
	.set _ZN2at6native12_GLOBAL__N_122cdist_kernel_cuda_implIfNS1_5distsIfE4zeroEEEvPT_PKS6_S9_S6_lllll.private_seg_size, 0
	.set _ZN2at6native12_GLOBAL__N_122cdist_kernel_cuda_implIfNS1_5distsIfE4zeroEEEvPT_PKS6_S9_S6_lllll.uses_vcc, 1
	.set _ZN2at6native12_GLOBAL__N_122cdist_kernel_cuda_implIfNS1_5distsIfE4zeroEEEvPT_PKS6_S9_S6_lllll.uses_flat_scratch, 0
	.set _ZN2at6native12_GLOBAL__N_122cdist_kernel_cuda_implIfNS1_5distsIfE4zeroEEEvPT_PKS6_S9_S6_lllll.has_dyn_sized_stack, 0
	.set _ZN2at6native12_GLOBAL__N_122cdist_kernel_cuda_implIfNS1_5distsIfE4zeroEEEvPT_PKS6_S9_S6_lllll.has_recursion, 0
	.set _ZN2at6native12_GLOBAL__N_122cdist_kernel_cuda_implIfNS1_5distsIfE4zeroEEEvPT_PKS6_S9_S6_lllll.has_indirect_call, 0
	.section	.AMDGPU.csdata,"",@progbits
; Kernel info:
; codeLenInByte = 2292
; TotalNumSgprs: 41
; NumVgprs: 14
; ScratchSize: 0
; MemoryBound: 0
; FloatMode: 240
; IeeeMode: 1
; LDSByteSize: 1024 bytes/workgroup (compile time only)
; SGPRBlocks: 5
; VGPRBlocks: 3
; NumSGPRsForWavesPerEU: 41
; NumVGPRsForWavesPerEU: 14
; Occupancy: 10
; WaveLimiterHint : 0
; COMPUTE_PGM_RSRC2:SCRATCH_EN: 0
; COMPUTE_PGM_RSRC2:USER_SGPR: 6
; COMPUTE_PGM_RSRC2:TRAP_HANDLER: 0
; COMPUTE_PGM_RSRC2:TGID_X_EN: 1
; COMPUTE_PGM_RSRC2:TGID_Y_EN: 0
; COMPUTE_PGM_RSRC2:TGID_Z_EN: 0
; COMPUTE_PGM_RSRC2:TIDIG_COMP_CNT: 0
	.section	.text._ZN2at6native12_GLOBAL__N_122cdist_kernel_cuda_implIfNS1_5distsIfE3oneEEEvPT_PKS6_S9_S6_lllll,"axG",@progbits,_ZN2at6native12_GLOBAL__N_122cdist_kernel_cuda_implIfNS1_5distsIfE3oneEEEvPT_PKS6_S9_S6_lllll,comdat
	.globl	_ZN2at6native12_GLOBAL__N_122cdist_kernel_cuda_implIfNS1_5distsIfE3oneEEEvPT_PKS6_S9_S6_lllll ; -- Begin function _ZN2at6native12_GLOBAL__N_122cdist_kernel_cuda_implIfNS1_5distsIfE3oneEEEvPT_PKS6_S9_S6_lllll
	.p2align	8
	.type	_ZN2at6native12_GLOBAL__N_122cdist_kernel_cuda_implIfNS1_5distsIfE3oneEEEvPT_PKS6_S9_S6_lllll,@function
_ZN2at6native12_GLOBAL__N_122cdist_kernel_cuda_implIfNS1_5distsIfE3oneEEEvPT_PKS6_S9_S6_lllll: ; @_ZN2at6native12_GLOBAL__N_122cdist_kernel_cuda_implIfNS1_5distsIfE3oneEEEvPT_PKS6_S9_S6_lllll
; %bb.0:
	s_load_dwordx8 s[8:15], s[4:5], 0x20
	s_load_dwordx2 s[16:17], s[4:5], 0x40
	s_mov_b32 s7, 0
	s_mov_b32 s0, s7
	s_waitcnt lgkmcnt(0)
	s_mov_b32 s1, s13
	s_cmp_lg_u64 s[0:1], 0
	s_cbranch_scc0 .LBB7_19
; %bb.1:
	s_ashr_i32 s0, s13, 31
	s_add_u32 s2, s12, s0
	s_mov_b32 s1, s0
	s_addc_u32 s3, s13, s0
	s_xor_b64 s[18:19], s[2:3], s[0:1]
	v_cvt_f32_u32_e32 v1, s18
	v_cvt_f32_u32_e32 v2, s19
	s_sub_u32 s22, 0, s18
	s_subb_u32 s23, 0, s19
	v_madmk_f32 v1, v2, 0x4f800000, v1
	v_rcp_f32_e32 v1, v1
	v_mul_f32_e32 v1, 0x5f7ffffc, v1
	v_mul_f32_e32 v2, 0x2f800000, v1
	v_trunc_f32_e32 v2, v2
	v_madmk_f32 v1, v2, 0xcf800000, v1
	v_cvt_u32_f32_e32 v2, v2
	v_cvt_u32_f32_e32 v1, v1
	v_readfirstlane_b32 s24, v2
	v_readfirstlane_b32 s20, v1
	s_mul_i32 s21, s22, s24
	s_mul_hi_u32 s26, s22, s20
	s_mul_i32 s25, s23, s20
	s_add_i32 s21, s26, s21
	s_add_i32 s21, s21, s25
	s_mul_i32 s27, s22, s20
	s_mul_i32 s26, s20, s21
	s_mul_hi_u32 s28, s20, s27
	s_mul_hi_u32 s25, s20, s21
	s_add_u32 s26, s28, s26
	s_addc_u32 s25, 0, s25
	s_mul_hi_u32 s29, s24, s27
	s_mul_i32 s27, s24, s27
	s_add_u32 s26, s26, s27
	s_mul_hi_u32 s28, s24, s21
	s_addc_u32 s25, s25, s29
	s_addc_u32 s26, s28, 0
	s_mul_i32 s21, s24, s21
	s_add_u32 s21, s25, s21
	s_addc_u32 s25, 0, s26
	s_add_u32 s26, s20, s21
	s_cselect_b64 s[20:21], -1, 0
	s_cmp_lg_u64 s[20:21], 0
	s_addc_u32 s24, s24, s25
	s_mul_i32 s20, s22, s24
	s_mul_hi_u32 s21, s22, s26
	s_add_i32 s20, s21, s20
	s_mul_i32 s23, s23, s26
	s_add_i32 s20, s20, s23
	s_mul_i32 s22, s22, s26
	s_mul_hi_u32 s23, s24, s22
	s_mul_i32 s25, s24, s22
	s_mul_i32 s28, s26, s20
	s_mul_hi_u32 s22, s26, s22
	s_mul_hi_u32 s27, s26, s20
	s_add_u32 s22, s22, s28
	s_addc_u32 s27, 0, s27
	s_add_u32 s22, s22, s25
	s_mul_hi_u32 s21, s24, s20
	s_addc_u32 s22, s27, s23
	s_addc_u32 s21, s21, 0
	s_mul_i32 s20, s24, s20
	s_add_u32 s20, s22, s20
	s_addc_u32 s22, 0, s21
	s_add_u32 s23, s26, s20
	s_cselect_b64 s[20:21], -1, 0
	s_cmp_lg_u64 s[20:21], 0
	s_addc_u32 s22, s24, s22
	s_add_u32 s20, s6, 0
	s_addc_u32 s21, 0, 0
	s_xor_b64 s[20:21], s[20:21], 0
	s_mul_i32 s25, s20, s22
	s_mul_hi_u32 s26, s20, s23
	s_mul_hi_u32 s24, s20, s22
	s_add_u32 s25, s26, s25
	s_addc_u32 s24, 0, s24
	s_mul_hi_u32 s27, s21, s23
	s_mul_i32 s23, s21, s23
	s_add_u32 s23, s25, s23
	s_mul_hi_u32 s26, s21, s22
	s_addc_u32 s23, s24, s27
	s_addc_u32 s24, s26, 0
	s_mul_i32 s22, s21, s22
	s_add_u32 s26, s23, s22
	s_addc_u32 s27, 0, s24
	s_mul_i32 s22, s18, s27
	s_mul_hi_u32 s23, s18, s26
	s_add_i32 s22, s23, s22
	s_mul_i32 s23, s19, s26
	s_add_i32 s28, s22, s23
	s_sub_i32 s24, s21, s28
	s_mul_i32 s22, s18, s26
	s_sub_u32 s20, s20, s22
	s_cselect_b64 s[22:23], -1, 0
	s_cmp_lg_u64 s[22:23], 0
	s_subb_u32 s29, s24, s19
	s_sub_u32 s30, s20, s18
	s_cselect_b64 s[24:25], -1, 0
	s_cmp_lg_u64 s[24:25], 0
	s_subb_u32 s24, s29, 0
	s_cmp_ge_u32 s24, s19
	s_cselect_b32 s25, -1, 0
	s_cmp_ge_u32 s30, s18
	s_cselect_b32 s29, -1, 0
	s_cmp_eq_u32 s24, s19
	s_cselect_b32 s24, s29, s25
	s_add_u32 s25, s26, 1
	s_addc_u32 s29, s27, 0
	s_add_u32 s30, s26, 2
	s_addc_u32 s31, s27, 0
	s_cmp_lg_u32 s24, 0
	s_cselect_b32 s24, s30, s25
	s_cselect_b32 s25, s31, s29
	s_cmp_lg_u64 s[22:23], 0
	s_subb_u32 s21, s21, s28
	s_cmp_ge_u32 s21, s19
	s_cselect_b32 s22, -1, 0
	s_cmp_ge_u32 s20, s18
	s_cselect_b32 s18, -1, 0
	s_cmp_eq_u32 s21, s19
	s_cselect_b32 s18, s18, s22
	s_cmp_lg_u32 s18, 0
	s_cselect_b32 s19, s25, s27
	s_cselect_b32 s18, s24, s26
	s_xor_b64 s[0:1], 0, s[0:1]
	s_xor_b64 s[18:19], s[18:19], s[0:1]
	s_sub_u32 s18, s18, s0
	s_subb_u32 s19, s19, s1
	s_cbranch_execnz .LBB7_3
.LBB7_2:
	v_cvt_f32_u32_e32 v1, s12
	s_sub_i32 s0, 0, s12
	s_mov_b32 s19, 0
	v_rcp_iflag_f32_e32 v1, v1
	v_mul_f32_e32 v1, 0x4f7ffffe, v1
	v_cvt_u32_f32_e32 v1, v1
	v_readfirstlane_b32 s1, v1
	s_mul_i32 s0, s0, s1
	s_mul_hi_u32 s0, s1, s0
	s_add_i32 s1, s1, s0
	s_mul_hi_u32 s0, s6, s1
	s_mul_i32 s2, s0, s12
	s_sub_i32 s2, s6, s2
	s_add_i32 s1, s0, 1
	s_sub_i32 s3, s2, s12
	s_cmp_ge_u32 s2, s12
	s_cselect_b32 s0, s1, s0
	s_cselect_b32 s2, s3, s2
	s_add_i32 s1, s0, 1
	s_cmp_ge_u32 s2, s12
	s_cselect_b32 s18, s1, s0
.LBB7_3:
	s_mul_i32 s0, s18, s13
	s_mul_hi_u32 s1, s18, s12
	s_add_i32 s0, s1, s0
	s_mul_i32 s1, s19, s12
	s_add_i32 s0, s0, s1
	s_mul_i32 s1, s18, s12
	s_sub_u32 s12, s6, s1
	s_subb_u32 s13, 0, s0
	s_or_b64 s[0:1], s[12:13], s[8:9]
	s_mov_b32 s0, 0
	s_cmp_lg_u64 s[0:1], 0
	s_cbranch_scc0 .LBB7_20
; %bb.4:
	s_ashr_i32 s0, s9, 31
	s_add_u32 s2, s8, s0
	s_mov_b32 s1, s0
	s_addc_u32 s3, s9, s0
	s_xor_b64 s[20:21], s[2:3], s[0:1]
	v_cvt_f32_u32_e32 v1, s20
	v_cvt_f32_u32_e32 v2, s21
	s_sub_u32 s24, 0, s20
	s_subb_u32 s25, 0, s21
	v_madmk_f32 v1, v2, 0x4f800000, v1
	v_rcp_f32_e32 v1, v1
	v_mul_f32_e32 v1, 0x5f7ffffc, v1
	v_mul_f32_e32 v2, 0x2f800000, v1
	v_trunc_f32_e32 v2, v2
	v_madmk_f32 v1, v2, 0xcf800000, v1
	v_cvt_u32_f32_e32 v2, v2
	v_cvt_u32_f32_e32 v1, v1
	v_readfirstlane_b32 s26, v2
	v_readfirstlane_b32 s22, v1
	s_mul_i32 s23, s24, s26
	s_mul_hi_u32 s28, s24, s22
	s_mul_i32 s27, s25, s22
	s_add_i32 s23, s28, s23
	s_add_i32 s23, s23, s27
	s_mul_i32 s29, s24, s22
	s_mul_i32 s28, s22, s23
	s_mul_hi_u32 s30, s22, s29
	s_mul_hi_u32 s27, s22, s23
	s_add_u32 s28, s30, s28
	s_addc_u32 s27, 0, s27
	s_mul_hi_u32 s31, s26, s29
	s_mul_i32 s29, s26, s29
	s_add_u32 s28, s28, s29
	s_mul_hi_u32 s30, s26, s23
	s_addc_u32 s27, s27, s31
	s_addc_u32 s28, s30, 0
	s_mul_i32 s23, s26, s23
	s_add_u32 s23, s27, s23
	s_addc_u32 s27, 0, s28
	s_add_u32 s28, s22, s23
	s_cselect_b64 s[22:23], -1, 0
	s_cmp_lg_u64 s[22:23], 0
	s_addc_u32 s26, s26, s27
	s_mul_i32 s22, s24, s26
	s_mul_hi_u32 s23, s24, s28
	s_add_i32 s22, s23, s22
	s_mul_i32 s25, s25, s28
	s_add_i32 s22, s22, s25
	s_mul_i32 s24, s24, s28
	s_mul_hi_u32 s25, s26, s24
	s_mul_i32 s27, s26, s24
	s_mul_i32 s30, s28, s22
	s_mul_hi_u32 s24, s28, s24
	s_mul_hi_u32 s29, s28, s22
	s_add_u32 s24, s24, s30
	s_addc_u32 s29, 0, s29
	s_add_u32 s24, s24, s27
	s_mul_hi_u32 s23, s26, s22
	s_addc_u32 s24, s29, s25
	s_addc_u32 s23, s23, 0
	s_mul_i32 s22, s26, s22
	s_add_u32 s22, s24, s22
	s_addc_u32 s24, 0, s23
	s_add_u32 s27, s28, s22
	s_cselect_b64 s[22:23], -1, 0
	s_cmp_lg_u64 s[22:23], 0
	s_addc_u32 s26, s26, s24
	s_ashr_i32 s22, s13, 31
	s_add_u32 s24, s12, s22
	s_mov_b32 s23, s22
	s_addc_u32 s25, s13, s22
	s_xor_b64 s[24:25], s[24:25], s[22:23]
	s_mul_i32 s29, s24, s26
	s_mul_hi_u32 s30, s24, s27
	s_mul_hi_u32 s28, s24, s26
	s_add_u32 s29, s30, s29
	s_addc_u32 s28, 0, s28
	s_mul_hi_u32 s31, s25, s27
	s_mul_i32 s27, s25, s27
	s_add_u32 s27, s29, s27
	s_mul_hi_u32 s30, s25, s26
	s_addc_u32 s27, s28, s31
	s_addc_u32 s28, s30, 0
	s_mul_i32 s26, s25, s26
	s_add_u32 s30, s27, s26
	s_addc_u32 s31, 0, s28
	s_mul_i32 s26, s20, s31
	s_mul_hi_u32 s27, s20, s30
	s_add_i32 s26, s27, s26
	s_mul_i32 s27, s21, s30
	s_add_i32 s33, s26, s27
	s_sub_i32 s28, s25, s33
	s_mul_i32 s26, s20, s30
	s_sub_u32 s24, s24, s26
	s_cselect_b64 s[26:27], -1, 0
	s_cmp_lg_u64 s[26:27], 0
	s_subb_u32 s34, s28, s21
	s_sub_u32 s35, s24, s20
	s_cselect_b64 s[28:29], -1, 0
	s_cmp_lg_u64 s[28:29], 0
	s_subb_u32 s28, s34, 0
	s_cmp_ge_u32 s28, s21
	s_cselect_b32 s29, -1, 0
	s_cmp_ge_u32 s35, s20
	s_cselect_b32 s34, -1, 0
	s_cmp_eq_u32 s28, s21
	s_cselect_b32 s28, s34, s29
	s_add_u32 s29, s30, 1
	s_addc_u32 s34, s31, 0
	s_add_u32 s35, s30, 2
	s_addc_u32 s36, s31, 0
	s_cmp_lg_u32 s28, 0
	s_cselect_b32 s28, s35, s29
	s_cselect_b32 s29, s36, s34
	s_cmp_lg_u64 s[26:27], 0
	s_subb_u32 s25, s25, s33
	s_cmp_ge_u32 s25, s21
	s_cselect_b32 s26, -1, 0
	s_cmp_ge_u32 s24, s20
	s_cselect_b32 s20, -1, 0
	s_cmp_eq_u32 s25, s21
	s_cselect_b32 s20, s20, s26
	s_cmp_lg_u32 s20, 0
	s_cselect_b32 s21, s29, s31
	s_cselect_b32 s20, s28, s30
	s_xor_b64 s[0:1], s[22:23], s[0:1]
	s_xor_b64 s[20:21], s[20:21], s[0:1]
	s_sub_u32 s20, s20, s0
	s_subb_u32 s21, s21, s1
	s_cbranch_execnz .LBB7_6
.LBB7_5:
	v_cvt_f32_u32_e32 v1, s8
	s_sub_i32 s0, 0, s8
	s_mov_b32 s21, 0
	v_rcp_iflag_f32_e32 v1, v1
	v_mul_f32_e32 v1, 0x4f7ffffe, v1
	v_cvt_u32_f32_e32 v1, v1
	v_readfirstlane_b32 s1, v1
	s_mul_i32 s0, s0, s1
	s_mul_hi_u32 s0, s1, s0
	s_add_i32 s1, s1, s0
	s_mul_hi_u32 s0, s12, s1
	s_mul_i32 s2, s0, s8
	s_sub_i32 s2, s12, s2
	s_add_i32 s1, s0, 1
	s_sub_i32 s3, s2, s8
	s_cmp_ge_u32 s2, s8
	s_cselect_b32 s0, s1, s0
	s_cselect_b32 s2, s3, s2
	s_add_i32 s1, s0, 1
	s_cmp_ge_u32 s2, s8
	s_cselect_b32 s20, s1, s0
.LBB7_6:
	s_load_dwordx4 s[0:3], s[4:5], 0x0
	s_load_dwordx2 s[22:23], s[4:5], 0x10
	s_load_dword s24, s[4:5], 0x54
	v_mov_b32_e32 v1, 0
	v_cmp_gt_i64_e32 vcc, s[10:11], v[0:1]
	s_and_saveexec_b64 s[4:5], vcc
	s_cbranch_execz .LBB7_10
; %bb.7:
	s_mul_i32 s15, s18, s15
	s_mul_hi_u32 s25, s18, s14
	s_add_i32 s15, s25, s15
	s_mul_i32 s25, s19, s14
	s_add_i32 s15, s15, s25
	s_mul_i32 s14, s18, s14
	s_lshl_b64 s[14:15], s[14:15], 2
	s_waitcnt lgkmcnt(0)
	s_add_u32 s14, s2, s14
	s_addc_u32 s15, s3, s15
	s_mul_i32 s2, s20, s11
	s_mul_hi_u32 s3, s20, s10
	s_add_i32 s2, s3, s2
	s_mul_i32 s3, s21, s10
	s_add_i32 s3, s2, s3
	s_mul_i32 s2, s20, s10
	s_lshl_b64 s[2:3], s[2:3], 2
	s_add_u32 s14, s14, s2
	s_addc_u32 s15, s15, s3
	s_lshl_b64 s[2:3], s[10:11], 2
	s_add_u32 s2, s14, s2
	s_mul_i32 s17, s18, s17
	s_mul_hi_u32 s25, s18, s16
	s_addc_u32 s3, s15, s3
	s_add_i32 s17, s25, s17
	s_mul_i32 s19, s19, s16
	s_add_i32 s17, s17, s19
	s_mul_i32 s16, s18, s16
	s_lshl_b64 s[16:17], s[16:17], 2
	s_add_u32 s16, s22, s16
	s_mul_i32 s9, s20, s9
	s_mul_hi_u32 s18, s20, s8
	s_addc_u32 s17, s23, s17
	s_add_i32 s9, s18, s9
	s_mul_i32 s18, s21, s8
	s_add_i32 s9, s9, s18
	s_mul_i32 s8, s20, s8
	s_sub_u32 s8, s12, s8
	s_subb_u32 s9, s13, s9
	s_mul_i32 s11, s8, s11
	s_mul_hi_u32 s12, s8, s10
	s_add_i32 s11, s12, s11
	s_mul_i32 s9, s9, s10
	s_add_i32 s9, s11, s9
	s_mul_i32 s8, s8, s10
	s_lshl_b64 s[8:9], s[8:9], 2
	v_lshlrev_b32_e32 v4, 2, v0
	s_add_u32 s10, s16, s8
	v_mov_b32_e32 v5, 0
	v_mov_b32_e32 v1, s15
	v_add_co_u32_e32 v2, vcc, s14, v4
	s_addc_u32 s12, s17, s9
	s_and_b32 s13, s24, 0xffff
	v_addc_co_u32_e32 v3, vcc, 0, v1, vcc
	s_lshl_b32 s11, s13, 2
	s_mov_b64 s[8:9], 0
	v_mov_b32_e32 v6, s12
	v_mov_b32_e32 v7, s15
	s_lshl_b32 s12, s13, 2
	v_mov_b32_e32 v1, v5
.LBB7_8:                                ; =>This Inner Loop Header: Depth=1
	v_add_co_u32_e32 v8, vcc, s10, v4
	v_addc_co_u32_e32 v9, vcc, v6, v5, vcc
	v_add_co_u32_e32 v10, vcc, s14, v4
	v_addc_co_u32_e32 v11, vcc, v7, v5, vcc
	global_load_dword v12, v[10:11], off
	global_load_dword v13, v[8:9], off
	v_add_co_u32_e32 v2, vcc, s12, v2
	v_addc_co_u32_e32 v3, vcc, 0, v3, vcc
	v_add_co_u32_e32 v4, vcc, s11, v4
	v_addc_co_u32_e32 v5, vcc, 0, v5, vcc
	v_cmp_le_u64_e32 vcc, s[2:3], v[2:3]
	s_or_b64 s[8:9], vcc, s[8:9]
	s_waitcnt vmcnt(0)
	v_sub_f32_e32 v8, v12, v13
	v_add_f32_e64 v1, v1, |v8|
	s_andn2_b64 exec, exec, s[8:9]
	s_cbranch_execnz .LBB7_8
; %bb.9:
	s_or_b64 exec, exec, s[8:9]
.LBB7_10:
	s_or_b64 exec, exec, s[4:5]
	v_mbcnt_lo_u32_b32 v2, -1, 0
	v_mbcnt_hi_u32_b32 v6, -1, v2
	v_mov_b32_e32 v2, 0x80
	v_lshl_or_b32 v2, v6, 2, v2
	ds_bpermute_b32 v3, v2, v1
	v_and_b32_e32 v7, 63, v6
	v_cmp_gt_u32_e32 vcc, 48, v7
	v_cndmask_b32_e64 v4, 0, 16, vcc
	v_cmp_gt_u32_e32 vcc, 56, v7
	s_waitcnt lgkmcnt(0)
	v_add_f32_e32 v5, v1, v3
	v_add_lshl_u32 v1, v4, v6, 2
	ds_bpermute_b32 v4, v1, v5
	v_cndmask_b32_e64 v3, 0, 8, vcc
	v_add_lshl_u32 v3, v3, v6, 2
	v_cmp_gt_u32_e32 vcc, 60, v7
	s_waitcnt lgkmcnt(0)
	v_add_f32_e32 v5, v5, v4
	ds_bpermute_b32 v8, v3, v5
	v_cndmask_b32_e64 v4, 0, 4, vcc
	v_add_lshl_u32 v4, v4, v6, 2
	v_cmp_gt_u32_e32 vcc, 62, v7
	s_waitcnt lgkmcnt(0)
	s_barrier
	v_add_f32_e32 v8, v5, v8
	ds_bpermute_b32 v9, v4, v8
	v_cndmask_b32_e64 v5, 0, 2, vcc
	v_add_lshl_u32 v5, v5, v6, 2
	v_cmp_ne_u32_e32 vcc, 63, v7
	v_addc_co_u32_e32 v6, vcc, 0, v6, vcc
	s_waitcnt lgkmcnt(0)
	v_add_f32_e32 v9, v8, v9
	ds_bpermute_b32 v10, v5, v9
	v_lshlrev_b32_e32 v6, 2, v6
	v_and_b32_e32 v8, 63, v0
	v_cmp_eq_u32_e32 vcc, 0, v8
	s_waitcnt lgkmcnt(0)
	v_add_f32_e32 v7, v9, v10
	ds_bpermute_b32 v9, v6, v7
	s_and_saveexec_b64 s[2:3], vcc
	s_cbranch_execz .LBB7_12
; %bb.11:
	s_waitcnt lgkmcnt(0)
	v_add_f32_e32 v7, v7, v9
	v_lshrrev_b32_e32 v9, 4, v0
	ds_write_b32 v9, v7
.LBB7_12:
	s_or_b64 exec, exec, s[2:3]
	s_and_b32 s2, 0xffff, s24
	s_lshr_b32 s2, s2, 6
	v_cmp_gt_u32_e32 vcc, s2, v0
	v_mov_b32_e32 v7, 0
	s_waitcnt lgkmcnt(0)
	s_barrier
	s_and_saveexec_b64 s[2:3], vcc
	s_cbranch_execnz .LBB7_16
; %bb.13:
	s_or_b64 exec, exec, s[2:3]
	v_cmp_gt_u32_e32 vcc, 64, v0
	s_and_saveexec_b64 s[2:3], vcc
	s_cbranch_execnz .LBB7_17
.LBB7_14:
	s_or_b64 exec, exec, s[2:3]
	v_cmp_eq_u32_e32 vcc, 0, v0
	s_and_saveexec_b64 s[2:3], vcc
	s_cbranch_execnz .LBB7_18
.LBB7_15:
	s_endpgm
.LBB7_16:
	v_lshlrev_b32_e32 v7, 2, v8
	ds_read_b32 v7, v7
	s_or_b64 exec, exec, s[2:3]
	v_cmp_gt_u32_e32 vcc, 64, v0
	s_and_saveexec_b64 s[2:3], vcc
	s_cbranch_execz .LBB7_14
.LBB7_17:
	s_waitcnt lgkmcnt(0)
	ds_bpermute_b32 v2, v2, v7
	s_waitcnt lgkmcnt(0)
	v_add_f32_e32 v2, v7, v2
	ds_bpermute_b32 v1, v1, v2
	s_waitcnt lgkmcnt(0)
	v_add_f32_e32 v1, v2, v1
	;; [unrolled: 3-line block ×6, first 2 shown]
	s_or_b64 exec, exec, s[2:3]
	v_cmp_eq_u32_e32 vcc, 0, v0
	s_and_saveexec_b64 s[2:3], vcc
	s_cbranch_execz .LBB7_15
.LBB7_18:
	s_lshl_b64 s[2:3], s[6:7], 2
	s_add_u32 s0, s0, s2
	s_addc_u32 s1, s1, s3
	v_mov_b32_e32 v0, 0
	s_waitcnt lgkmcnt(0)
	global_store_dword v0, v7, s[0:1]
	s_endpgm
.LBB7_19:
                                        ; implicit-def: $sgpr18_sgpr19
	s_branch .LBB7_2
.LBB7_20:
                                        ; implicit-def: $sgpr20_sgpr21
	s_branch .LBB7_5
	.section	.rodata,"a",@progbits
	.p2align	6, 0x0
	.amdhsa_kernel _ZN2at6native12_GLOBAL__N_122cdist_kernel_cuda_implIfNS1_5distsIfE3oneEEEvPT_PKS6_S9_S6_lllll
		.amdhsa_group_segment_fixed_size 1024
		.amdhsa_private_segment_fixed_size 0
		.amdhsa_kernarg_size 328
		.amdhsa_user_sgpr_count 6
		.amdhsa_user_sgpr_private_segment_buffer 1
		.amdhsa_user_sgpr_dispatch_ptr 0
		.amdhsa_user_sgpr_queue_ptr 0
		.amdhsa_user_sgpr_kernarg_segment_ptr 1
		.amdhsa_user_sgpr_dispatch_id 0
		.amdhsa_user_sgpr_flat_scratch_init 0
		.amdhsa_user_sgpr_private_segment_size 0
		.amdhsa_uses_dynamic_stack 0
		.amdhsa_system_sgpr_private_segment_wavefront_offset 0
		.amdhsa_system_sgpr_workgroup_id_x 1
		.amdhsa_system_sgpr_workgroup_id_y 0
		.amdhsa_system_sgpr_workgroup_id_z 0
		.amdhsa_system_sgpr_workgroup_info 0
		.amdhsa_system_vgpr_workitem_id 0
		.amdhsa_next_free_vgpr 14
		.amdhsa_next_free_sgpr 37
		.amdhsa_reserve_vcc 1
		.amdhsa_reserve_flat_scratch 0
		.amdhsa_float_round_mode_32 0
		.amdhsa_float_round_mode_16_64 0
		.amdhsa_float_denorm_mode_32 3
		.amdhsa_float_denorm_mode_16_64 3
		.amdhsa_dx10_clamp 1
		.amdhsa_ieee_mode 1
		.amdhsa_fp16_overflow 0
		.amdhsa_exception_fp_ieee_invalid_op 0
		.amdhsa_exception_fp_denorm_src 0
		.amdhsa_exception_fp_ieee_div_zero 0
		.amdhsa_exception_fp_ieee_overflow 0
		.amdhsa_exception_fp_ieee_underflow 0
		.amdhsa_exception_fp_ieee_inexact 0
		.amdhsa_exception_int_div_zero 0
	.end_amdhsa_kernel
	.section	.text._ZN2at6native12_GLOBAL__N_122cdist_kernel_cuda_implIfNS1_5distsIfE3oneEEEvPT_PKS6_S9_S6_lllll,"axG",@progbits,_ZN2at6native12_GLOBAL__N_122cdist_kernel_cuda_implIfNS1_5distsIfE3oneEEEvPT_PKS6_S9_S6_lllll,comdat
.Lfunc_end7:
	.size	_ZN2at6native12_GLOBAL__N_122cdist_kernel_cuda_implIfNS1_5distsIfE3oneEEEvPT_PKS6_S9_S6_lllll, .Lfunc_end7-_ZN2at6native12_GLOBAL__N_122cdist_kernel_cuda_implIfNS1_5distsIfE3oneEEEvPT_PKS6_S9_S6_lllll
                                        ; -- End function
	.set _ZN2at6native12_GLOBAL__N_122cdist_kernel_cuda_implIfNS1_5distsIfE3oneEEEvPT_PKS6_S9_S6_lllll.num_vgpr, 14
	.set _ZN2at6native12_GLOBAL__N_122cdist_kernel_cuda_implIfNS1_5distsIfE3oneEEEvPT_PKS6_S9_S6_lllll.num_agpr, 0
	.set _ZN2at6native12_GLOBAL__N_122cdist_kernel_cuda_implIfNS1_5distsIfE3oneEEEvPT_PKS6_S9_S6_lllll.numbered_sgpr, 37
	.set _ZN2at6native12_GLOBAL__N_122cdist_kernel_cuda_implIfNS1_5distsIfE3oneEEEvPT_PKS6_S9_S6_lllll.num_named_barrier, 0
	.set _ZN2at6native12_GLOBAL__N_122cdist_kernel_cuda_implIfNS1_5distsIfE3oneEEEvPT_PKS6_S9_S6_lllll.private_seg_size, 0
	.set _ZN2at6native12_GLOBAL__N_122cdist_kernel_cuda_implIfNS1_5distsIfE3oneEEEvPT_PKS6_S9_S6_lllll.uses_vcc, 1
	.set _ZN2at6native12_GLOBAL__N_122cdist_kernel_cuda_implIfNS1_5distsIfE3oneEEEvPT_PKS6_S9_S6_lllll.uses_flat_scratch, 0
	.set _ZN2at6native12_GLOBAL__N_122cdist_kernel_cuda_implIfNS1_5distsIfE3oneEEEvPT_PKS6_S9_S6_lllll.has_dyn_sized_stack, 0
	.set _ZN2at6native12_GLOBAL__N_122cdist_kernel_cuda_implIfNS1_5distsIfE3oneEEEvPT_PKS6_S9_S6_lllll.has_recursion, 0
	.set _ZN2at6native12_GLOBAL__N_122cdist_kernel_cuda_implIfNS1_5distsIfE3oneEEEvPT_PKS6_S9_S6_lllll.has_indirect_call, 0
	.section	.AMDGPU.csdata,"",@progbits
; Kernel info:
; codeLenInByte = 2232
; TotalNumSgprs: 41
; NumVgprs: 14
; ScratchSize: 0
; MemoryBound: 0
; FloatMode: 240
; IeeeMode: 1
; LDSByteSize: 1024 bytes/workgroup (compile time only)
; SGPRBlocks: 5
; VGPRBlocks: 3
; NumSGPRsForWavesPerEU: 41
; NumVGPRsForWavesPerEU: 14
; Occupancy: 10
; WaveLimiterHint : 0
; COMPUTE_PGM_RSRC2:SCRATCH_EN: 0
; COMPUTE_PGM_RSRC2:USER_SGPR: 6
; COMPUTE_PGM_RSRC2:TRAP_HANDLER: 0
; COMPUTE_PGM_RSRC2:TGID_X_EN: 1
; COMPUTE_PGM_RSRC2:TGID_Y_EN: 0
; COMPUTE_PGM_RSRC2:TGID_Z_EN: 0
; COMPUTE_PGM_RSRC2:TIDIG_COMP_CNT: 0
	.section	.text._ZN2at6native12_GLOBAL__N_122cdist_kernel_cuda_implIfNS1_5distsIfE3twoEEEvPT_PKS6_S9_S6_lllll,"axG",@progbits,_ZN2at6native12_GLOBAL__N_122cdist_kernel_cuda_implIfNS1_5distsIfE3twoEEEvPT_PKS6_S9_S6_lllll,comdat
	.globl	_ZN2at6native12_GLOBAL__N_122cdist_kernel_cuda_implIfNS1_5distsIfE3twoEEEvPT_PKS6_S9_S6_lllll ; -- Begin function _ZN2at6native12_GLOBAL__N_122cdist_kernel_cuda_implIfNS1_5distsIfE3twoEEEvPT_PKS6_S9_S6_lllll
	.p2align	8
	.type	_ZN2at6native12_GLOBAL__N_122cdist_kernel_cuda_implIfNS1_5distsIfE3twoEEEvPT_PKS6_S9_S6_lllll,@function
_ZN2at6native12_GLOBAL__N_122cdist_kernel_cuda_implIfNS1_5distsIfE3twoEEEvPT_PKS6_S9_S6_lllll: ; @_ZN2at6native12_GLOBAL__N_122cdist_kernel_cuda_implIfNS1_5distsIfE3twoEEEvPT_PKS6_S9_S6_lllll
; %bb.0:
	s_load_dwordx8 s[8:15], s[4:5], 0x20
	s_load_dwordx2 s[16:17], s[4:5], 0x40
	s_mov_b32 s7, 0
	s_mov_b32 s0, s7
	s_waitcnt lgkmcnt(0)
	s_mov_b32 s1, s13
	s_cmp_lg_u64 s[0:1], 0
	s_cbranch_scc0 .LBB8_19
; %bb.1:
	s_ashr_i32 s0, s13, 31
	s_add_u32 s2, s12, s0
	s_mov_b32 s1, s0
	s_addc_u32 s3, s13, s0
	s_xor_b64 s[18:19], s[2:3], s[0:1]
	v_cvt_f32_u32_e32 v1, s18
	v_cvt_f32_u32_e32 v2, s19
	s_sub_u32 s22, 0, s18
	s_subb_u32 s23, 0, s19
	v_madmk_f32 v1, v2, 0x4f800000, v1
	v_rcp_f32_e32 v1, v1
	v_mul_f32_e32 v1, 0x5f7ffffc, v1
	v_mul_f32_e32 v2, 0x2f800000, v1
	v_trunc_f32_e32 v2, v2
	v_madmk_f32 v1, v2, 0xcf800000, v1
	v_cvt_u32_f32_e32 v2, v2
	v_cvt_u32_f32_e32 v1, v1
	v_readfirstlane_b32 s24, v2
	v_readfirstlane_b32 s20, v1
	s_mul_i32 s21, s22, s24
	s_mul_hi_u32 s26, s22, s20
	s_mul_i32 s25, s23, s20
	s_add_i32 s21, s26, s21
	s_add_i32 s21, s21, s25
	s_mul_i32 s27, s22, s20
	s_mul_i32 s26, s20, s21
	s_mul_hi_u32 s28, s20, s27
	s_mul_hi_u32 s25, s20, s21
	s_add_u32 s26, s28, s26
	s_addc_u32 s25, 0, s25
	s_mul_hi_u32 s29, s24, s27
	s_mul_i32 s27, s24, s27
	s_add_u32 s26, s26, s27
	s_mul_hi_u32 s28, s24, s21
	s_addc_u32 s25, s25, s29
	s_addc_u32 s26, s28, 0
	s_mul_i32 s21, s24, s21
	s_add_u32 s21, s25, s21
	s_addc_u32 s25, 0, s26
	s_add_u32 s26, s20, s21
	s_cselect_b64 s[20:21], -1, 0
	s_cmp_lg_u64 s[20:21], 0
	s_addc_u32 s24, s24, s25
	s_mul_i32 s20, s22, s24
	s_mul_hi_u32 s21, s22, s26
	s_add_i32 s20, s21, s20
	s_mul_i32 s23, s23, s26
	s_add_i32 s20, s20, s23
	s_mul_i32 s22, s22, s26
	s_mul_hi_u32 s23, s24, s22
	s_mul_i32 s25, s24, s22
	s_mul_i32 s28, s26, s20
	s_mul_hi_u32 s22, s26, s22
	s_mul_hi_u32 s27, s26, s20
	s_add_u32 s22, s22, s28
	s_addc_u32 s27, 0, s27
	s_add_u32 s22, s22, s25
	s_mul_hi_u32 s21, s24, s20
	s_addc_u32 s22, s27, s23
	s_addc_u32 s21, s21, 0
	s_mul_i32 s20, s24, s20
	s_add_u32 s20, s22, s20
	s_addc_u32 s22, 0, s21
	s_add_u32 s23, s26, s20
	s_cselect_b64 s[20:21], -1, 0
	s_cmp_lg_u64 s[20:21], 0
	s_addc_u32 s22, s24, s22
	s_add_u32 s20, s6, 0
	s_addc_u32 s21, 0, 0
	s_xor_b64 s[20:21], s[20:21], 0
	s_mul_i32 s25, s20, s22
	s_mul_hi_u32 s26, s20, s23
	s_mul_hi_u32 s24, s20, s22
	s_add_u32 s25, s26, s25
	s_addc_u32 s24, 0, s24
	s_mul_hi_u32 s27, s21, s23
	s_mul_i32 s23, s21, s23
	s_add_u32 s23, s25, s23
	s_mul_hi_u32 s26, s21, s22
	s_addc_u32 s23, s24, s27
	s_addc_u32 s24, s26, 0
	s_mul_i32 s22, s21, s22
	s_add_u32 s26, s23, s22
	s_addc_u32 s27, 0, s24
	s_mul_i32 s22, s18, s27
	s_mul_hi_u32 s23, s18, s26
	s_add_i32 s22, s23, s22
	s_mul_i32 s23, s19, s26
	s_add_i32 s28, s22, s23
	s_sub_i32 s24, s21, s28
	s_mul_i32 s22, s18, s26
	s_sub_u32 s20, s20, s22
	s_cselect_b64 s[22:23], -1, 0
	s_cmp_lg_u64 s[22:23], 0
	s_subb_u32 s29, s24, s19
	s_sub_u32 s30, s20, s18
	s_cselect_b64 s[24:25], -1, 0
	s_cmp_lg_u64 s[24:25], 0
	s_subb_u32 s24, s29, 0
	s_cmp_ge_u32 s24, s19
	s_cselect_b32 s25, -1, 0
	s_cmp_ge_u32 s30, s18
	s_cselect_b32 s29, -1, 0
	s_cmp_eq_u32 s24, s19
	s_cselect_b32 s24, s29, s25
	s_add_u32 s25, s26, 1
	s_addc_u32 s29, s27, 0
	s_add_u32 s30, s26, 2
	s_addc_u32 s31, s27, 0
	s_cmp_lg_u32 s24, 0
	s_cselect_b32 s24, s30, s25
	s_cselect_b32 s25, s31, s29
	s_cmp_lg_u64 s[22:23], 0
	s_subb_u32 s21, s21, s28
	s_cmp_ge_u32 s21, s19
	s_cselect_b32 s22, -1, 0
	s_cmp_ge_u32 s20, s18
	s_cselect_b32 s18, -1, 0
	s_cmp_eq_u32 s21, s19
	s_cselect_b32 s18, s18, s22
	s_cmp_lg_u32 s18, 0
	s_cselect_b32 s19, s25, s27
	s_cselect_b32 s18, s24, s26
	s_xor_b64 s[0:1], 0, s[0:1]
	s_xor_b64 s[18:19], s[18:19], s[0:1]
	s_sub_u32 s18, s18, s0
	s_subb_u32 s19, s19, s1
	s_cbranch_execnz .LBB8_3
.LBB8_2:
	v_cvt_f32_u32_e32 v1, s12
	s_sub_i32 s0, 0, s12
	s_mov_b32 s19, 0
	v_rcp_iflag_f32_e32 v1, v1
	v_mul_f32_e32 v1, 0x4f7ffffe, v1
	v_cvt_u32_f32_e32 v1, v1
	v_readfirstlane_b32 s1, v1
	s_mul_i32 s0, s0, s1
	s_mul_hi_u32 s0, s1, s0
	s_add_i32 s1, s1, s0
	s_mul_hi_u32 s0, s6, s1
	s_mul_i32 s2, s0, s12
	s_sub_i32 s2, s6, s2
	s_add_i32 s1, s0, 1
	s_sub_i32 s3, s2, s12
	s_cmp_ge_u32 s2, s12
	s_cselect_b32 s0, s1, s0
	s_cselect_b32 s2, s3, s2
	s_add_i32 s1, s0, 1
	s_cmp_ge_u32 s2, s12
	s_cselect_b32 s18, s1, s0
.LBB8_3:
	s_mul_i32 s0, s18, s13
	s_mul_hi_u32 s1, s18, s12
	s_add_i32 s0, s1, s0
	s_mul_i32 s1, s19, s12
	s_add_i32 s0, s0, s1
	s_mul_i32 s1, s18, s12
	s_sub_u32 s12, s6, s1
	s_subb_u32 s13, 0, s0
	s_or_b64 s[0:1], s[12:13], s[8:9]
	s_mov_b32 s0, 0
	s_cmp_lg_u64 s[0:1], 0
	s_cbranch_scc0 .LBB8_20
; %bb.4:
	s_ashr_i32 s0, s9, 31
	s_add_u32 s2, s8, s0
	s_mov_b32 s1, s0
	s_addc_u32 s3, s9, s0
	s_xor_b64 s[20:21], s[2:3], s[0:1]
	v_cvt_f32_u32_e32 v1, s20
	v_cvt_f32_u32_e32 v2, s21
	s_sub_u32 s24, 0, s20
	s_subb_u32 s25, 0, s21
	v_madmk_f32 v1, v2, 0x4f800000, v1
	v_rcp_f32_e32 v1, v1
	v_mul_f32_e32 v1, 0x5f7ffffc, v1
	v_mul_f32_e32 v2, 0x2f800000, v1
	v_trunc_f32_e32 v2, v2
	v_madmk_f32 v1, v2, 0xcf800000, v1
	v_cvt_u32_f32_e32 v2, v2
	v_cvt_u32_f32_e32 v1, v1
	v_readfirstlane_b32 s26, v2
	v_readfirstlane_b32 s22, v1
	s_mul_i32 s23, s24, s26
	s_mul_hi_u32 s28, s24, s22
	s_mul_i32 s27, s25, s22
	s_add_i32 s23, s28, s23
	s_add_i32 s23, s23, s27
	s_mul_i32 s29, s24, s22
	s_mul_i32 s28, s22, s23
	s_mul_hi_u32 s30, s22, s29
	s_mul_hi_u32 s27, s22, s23
	s_add_u32 s28, s30, s28
	s_addc_u32 s27, 0, s27
	s_mul_hi_u32 s31, s26, s29
	s_mul_i32 s29, s26, s29
	s_add_u32 s28, s28, s29
	s_mul_hi_u32 s30, s26, s23
	s_addc_u32 s27, s27, s31
	s_addc_u32 s28, s30, 0
	s_mul_i32 s23, s26, s23
	s_add_u32 s23, s27, s23
	s_addc_u32 s27, 0, s28
	s_add_u32 s28, s22, s23
	s_cselect_b64 s[22:23], -1, 0
	s_cmp_lg_u64 s[22:23], 0
	s_addc_u32 s26, s26, s27
	s_mul_i32 s22, s24, s26
	s_mul_hi_u32 s23, s24, s28
	s_add_i32 s22, s23, s22
	s_mul_i32 s25, s25, s28
	s_add_i32 s22, s22, s25
	s_mul_i32 s24, s24, s28
	s_mul_hi_u32 s25, s26, s24
	s_mul_i32 s27, s26, s24
	s_mul_i32 s30, s28, s22
	s_mul_hi_u32 s24, s28, s24
	s_mul_hi_u32 s29, s28, s22
	s_add_u32 s24, s24, s30
	s_addc_u32 s29, 0, s29
	s_add_u32 s24, s24, s27
	s_mul_hi_u32 s23, s26, s22
	s_addc_u32 s24, s29, s25
	s_addc_u32 s23, s23, 0
	s_mul_i32 s22, s26, s22
	s_add_u32 s22, s24, s22
	s_addc_u32 s24, 0, s23
	s_add_u32 s27, s28, s22
	s_cselect_b64 s[22:23], -1, 0
	s_cmp_lg_u64 s[22:23], 0
	s_addc_u32 s26, s26, s24
	s_ashr_i32 s22, s13, 31
	s_add_u32 s24, s12, s22
	s_mov_b32 s23, s22
	s_addc_u32 s25, s13, s22
	s_xor_b64 s[24:25], s[24:25], s[22:23]
	s_mul_i32 s29, s24, s26
	s_mul_hi_u32 s30, s24, s27
	s_mul_hi_u32 s28, s24, s26
	s_add_u32 s29, s30, s29
	s_addc_u32 s28, 0, s28
	s_mul_hi_u32 s31, s25, s27
	s_mul_i32 s27, s25, s27
	s_add_u32 s27, s29, s27
	s_mul_hi_u32 s30, s25, s26
	s_addc_u32 s27, s28, s31
	s_addc_u32 s28, s30, 0
	s_mul_i32 s26, s25, s26
	s_add_u32 s30, s27, s26
	s_addc_u32 s31, 0, s28
	s_mul_i32 s26, s20, s31
	s_mul_hi_u32 s27, s20, s30
	s_add_i32 s26, s27, s26
	s_mul_i32 s27, s21, s30
	s_add_i32 s33, s26, s27
	s_sub_i32 s28, s25, s33
	s_mul_i32 s26, s20, s30
	s_sub_u32 s24, s24, s26
	s_cselect_b64 s[26:27], -1, 0
	s_cmp_lg_u64 s[26:27], 0
	s_subb_u32 s34, s28, s21
	s_sub_u32 s35, s24, s20
	s_cselect_b64 s[28:29], -1, 0
	s_cmp_lg_u64 s[28:29], 0
	s_subb_u32 s28, s34, 0
	s_cmp_ge_u32 s28, s21
	s_cselect_b32 s29, -1, 0
	s_cmp_ge_u32 s35, s20
	s_cselect_b32 s34, -1, 0
	s_cmp_eq_u32 s28, s21
	s_cselect_b32 s28, s34, s29
	s_add_u32 s29, s30, 1
	s_addc_u32 s34, s31, 0
	s_add_u32 s35, s30, 2
	s_addc_u32 s36, s31, 0
	s_cmp_lg_u32 s28, 0
	s_cselect_b32 s28, s35, s29
	s_cselect_b32 s29, s36, s34
	s_cmp_lg_u64 s[26:27], 0
	s_subb_u32 s25, s25, s33
	s_cmp_ge_u32 s25, s21
	s_cselect_b32 s26, -1, 0
	s_cmp_ge_u32 s24, s20
	s_cselect_b32 s20, -1, 0
	s_cmp_eq_u32 s25, s21
	s_cselect_b32 s20, s20, s26
	s_cmp_lg_u32 s20, 0
	s_cselect_b32 s21, s29, s31
	s_cselect_b32 s20, s28, s30
	s_xor_b64 s[0:1], s[22:23], s[0:1]
	s_xor_b64 s[20:21], s[20:21], s[0:1]
	s_sub_u32 s20, s20, s0
	s_subb_u32 s21, s21, s1
	s_cbranch_execnz .LBB8_6
.LBB8_5:
	v_cvt_f32_u32_e32 v1, s8
	s_sub_i32 s0, 0, s8
	s_mov_b32 s21, 0
	v_rcp_iflag_f32_e32 v1, v1
	v_mul_f32_e32 v1, 0x4f7ffffe, v1
	v_cvt_u32_f32_e32 v1, v1
	v_readfirstlane_b32 s1, v1
	s_mul_i32 s0, s0, s1
	s_mul_hi_u32 s0, s1, s0
	s_add_i32 s1, s1, s0
	s_mul_hi_u32 s0, s12, s1
	s_mul_i32 s2, s0, s8
	s_sub_i32 s2, s12, s2
	s_add_i32 s1, s0, 1
	s_sub_i32 s3, s2, s8
	s_cmp_ge_u32 s2, s8
	s_cselect_b32 s0, s1, s0
	s_cselect_b32 s2, s3, s2
	s_add_i32 s1, s0, 1
	s_cmp_ge_u32 s2, s8
	s_cselect_b32 s20, s1, s0
.LBB8_6:
	s_load_dwordx4 s[0:3], s[4:5], 0x0
	s_load_dwordx2 s[22:23], s[4:5], 0x10
	s_load_dword s24, s[4:5], 0x54
	v_mov_b32_e32 v1, 0
	v_cmp_gt_i64_e32 vcc, s[10:11], v[0:1]
	s_and_saveexec_b64 s[4:5], vcc
	s_cbranch_execz .LBB8_10
; %bb.7:
	s_mul_i32 s15, s18, s15
	s_mul_hi_u32 s25, s18, s14
	s_add_i32 s15, s25, s15
	s_mul_i32 s25, s19, s14
	s_add_i32 s15, s15, s25
	s_mul_i32 s14, s18, s14
	s_lshl_b64 s[14:15], s[14:15], 2
	s_waitcnt lgkmcnt(0)
	s_add_u32 s14, s2, s14
	s_addc_u32 s15, s3, s15
	s_mul_i32 s2, s20, s11
	s_mul_hi_u32 s3, s20, s10
	s_add_i32 s2, s3, s2
	s_mul_i32 s3, s21, s10
	s_add_i32 s3, s2, s3
	s_mul_i32 s2, s20, s10
	s_lshl_b64 s[2:3], s[2:3], 2
	s_add_u32 s14, s14, s2
	s_addc_u32 s15, s15, s3
	s_lshl_b64 s[2:3], s[10:11], 2
	s_add_u32 s2, s14, s2
	s_mul_i32 s17, s18, s17
	s_mul_hi_u32 s25, s18, s16
	s_addc_u32 s3, s15, s3
	s_add_i32 s17, s25, s17
	s_mul_i32 s19, s19, s16
	s_add_i32 s17, s17, s19
	s_mul_i32 s16, s18, s16
	s_lshl_b64 s[16:17], s[16:17], 2
	s_add_u32 s16, s22, s16
	s_mul_i32 s9, s20, s9
	s_mul_hi_u32 s18, s20, s8
	s_addc_u32 s17, s23, s17
	s_add_i32 s9, s18, s9
	s_mul_i32 s18, s21, s8
	s_add_i32 s9, s9, s18
	s_mul_i32 s8, s20, s8
	s_sub_u32 s8, s12, s8
	s_subb_u32 s9, s13, s9
	s_mul_i32 s11, s8, s11
	s_mul_hi_u32 s12, s8, s10
	s_add_i32 s11, s12, s11
	s_mul_i32 s9, s9, s10
	s_add_i32 s9, s11, s9
	s_mul_i32 s8, s8, s10
	s_lshl_b64 s[8:9], s[8:9], 2
	v_lshlrev_b32_e32 v4, 2, v0
	s_add_u32 s10, s16, s8
	v_mov_b32_e32 v5, 0
	v_mov_b32_e32 v1, s15
	v_add_co_u32_e32 v2, vcc, s14, v4
	s_addc_u32 s12, s17, s9
	s_and_b32 s13, s24, 0xffff
	v_addc_co_u32_e32 v3, vcc, 0, v1, vcc
	s_lshl_b32 s11, s13, 2
	s_mov_b64 s[8:9], 0
	v_mov_b32_e32 v6, s12
	v_mov_b32_e32 v7, s15
	s_lshl_b32 s12, s13, 2
	v_mov_b32_e32 v1, v5
.LBB8_8:                                ; =>This Inner Loop Header: Depth=1
	v_add_co_u32_e32 v8, vcc, s10, v4
	v_addc_co_u32_e32 v9, vcc, v6, v5, vcc
	v_add_co_u32_e32 v10, vcc, s14, v4
	v_addc_co_u32_e32 v11, vcc, v7, v5, vcc
	global_load_dword v12, v[10:11], off
	global_load_dword v13, v[8:9], off
	v_add_co_u32_e32 v2, vcc, s12, v2
	v_addc_co_u32_e32 v3, vcc, 0, v3, vcc
	v_add_co_u32_e32 v4, vcc, s11, v4
	v_addc_co_u32_e32 v5, vcc, 0, v5, vcc
	v_cmp_le_u64_e32 vcc, s[2:3], v[2:3]
	s_or_b64 s[8:9], vcc, s[8:9]
	s_waitcnt vmcnt(0)
	v_sub_f32_e32 v8, v12, v13
	v_fmac_f32_e32 v1, v8, v8
	s_andn2_b64 exec, exec, s[8:9]
	s_cbranch_execnz .LBB8_8
; %bb.9:
	s_or_b64 exec, exec, s[8:9]
.LBB8_10:
	s_or_b64 exec, exec, s[4:5]
	v_mbcnt_lo_u32_b32 v2, -1, 0
	v_mbcnt_hi_u32_b32 v6, -1, v2
	v_mov_b32_e32 v2, 0x80
	v_lshl_or_b32 v2, v6, 2, v2
	ds_bpermute_b32 v3, v2, v1
	v_and_b32_e32 v7, 63, v6
	v_cmp_gt_u32_e32 vcc, 48, v7
	v_cndmask_b32_e64 v4, 0, 16, vcc
	v_cmp_gt_u32_e32 vcc, 56, v7
	s_waitcnt lgkmcnt(0)
	v_add_f32_e32 v5, v1, v3
	v_add_lshl_u32 v1, v4, v6, 2
	ds_bpermute_b32 v4, v1, v5
	v_cndmask_b32_e64 v3, 0, 8, vcc
	v_add_lshl_u32 v3, v3, v6, 2
	v_cmp_gt_u32_e32 vcc, 60, v7
	s_waitcnt lgkmcnt(0)
	v_add_f32_e32 v5, v5, v4
	ds_bpermute_b32 v8, v3, v5
	v_cndmask_b32_e64 v4, 0, 4, vcc
	v_add_lshl_u32 v4, v4, v6, 2
	v_cmp_gt_u32_e32 vcc, 62, v7
	s_waitcnt lgkmcnt(0)
	s_barrier
	v_add_f32_e32 v8, v5, v8
	ds_bpermute_b32 v9, v4, v8
	v_cndmask_b32_e64 v5, 0, 2, vcc
	v_add_lshl_u32 v5, v5, v6, 2
	v_cmp_ne_u32_e32 vcc, 63, v7
	v_addc_co_u32_e32 v6, vcc, 0, v6, vcc
	s_waitcnt lgkmcnt(0)
	v_add_f32_e32 v9, v8, v9
	ds_bpermute_b32 v10, v5, v9
	v_lshlrev_b32_e32 v6, 2, v6
	v_and_b32_e32 v8, 63, v0
	v_cmp_eq_u32_e32 vcc, 0, v8
	s_waitcnt lgkmcnt(0)
	v_add_f32_e32 v7, v9, v10
	ds_bpermute_b32 v9, v6, v7
	s_and_saveexec_b64 s[2:3], vcc
	s_cbranch_execz .LBB8_12
; %bb.11:
	s_waitcnt lgkmcnt(0)
	v_add_f32_e32 v7, v7, v9
	v_lshrrev_b32_e32 v9, 4, v0
	ds_write_b32 v9, v7
.LBB8_12:
	s_or_b64 exec, exec, s[2:3]
	s_and_b32 s2, 0xffff, s24
	s_lshr_b32 s2, s2, 6
	v_cmp_gt_u32_e32 vcc, s2, v0
	v_mov_b32_e32 v7, 0
	s_waitcnt lgkmcnt(0)
	s_barrier
	s_and_saveexec_b64 s[2:3], vcc
	s_cbranch_execnz .LBB8_16
; %bb.13:
	s_or_b64 exec, exec, s[2:3]
	v_cmp_gt_u32_e32 vcc, 64, v0
	s_and_saveexec_b64 s[2:3], vcc
	s_cbranch_execnz .LBB8_17
.LBB8_14:
	s_or_b64 exec, exec, s[2:3]
	v_cmp_eq_u32_e32 vcc, 0, v0
	s_and_saveexec_b64 s[2:3], vcc
	s_cbranch_execnz .LBB8_18
.LBB8_15:
	s_endpgm
.LBB8_16:
	v_lshlrev_b32_e32 v7, 2, v8
	ds_read_b32 v7, v7
	s_or_b64 exec, exec, s[2:3]
	v_cmp_gt_u32_e32 vcc, 64, v0
	s_and_saveexec_b64 s[2:3], vcc
	s_cbranch_execz .LBB8_14
.LBB8_17:
	s_waitcnt lgkmcnt(0)
	ds_bpermute_b32 v2, v2, v7
	s_waitcnt lgkmcnt(0)
	v_add_f32_e32 v2, v7, v2
	ds_bpermute_b32 v1, v1, v2
	s_waitcnt lgkmcnt(0)
	v_add_f32_e32 v1, v2, v1
	;; [unrolled: 3-line block ×6, first 2 shown]
	s_or_b64 exec, exec, s[2:3]
	v_cmp_eq_u32_e32 vcc, 0, v0
	s_and_saveexec_b64 s[2:3], vcc
	s_cbranch_execz .LBB8_15
.LBB8_18:
	s_mov_b32 s4, 0xf800000
	s_waitcnt lgkmcnt(0)
	v_mul_f32_e32 v0, 0x4f800000, v7
	v_cmp_gt_f32_e32 vcc, s4, v7
	v_cndmask_b32_e32 v0, v7, v0, vcc
	v_sqrt_f32_e32 v1, v0
	s_lshl_b64 s[2:3], s[6:7], 2
	s_add_u32 s2, s0, s2
	s_addc_u32 s3, s1, s3
	v_add_u32_e32 v3, -1, v1
	v_fma_f32 v4, -v3, v1, v0
	v_cmp_ge_f32_e64 s[0:1], 0, v4
	v_add_u32_e32 v4, 1, v1
	v_cndmask_b32_e64 v3, v1, v3, s[0:1]
	v_fma_f32 v1, -v4, v1, v0
	v_cmp_lt_f32_e64 s[0:1], 0, v1
	v_cndmask_b32_e64 v1, v3, v4, s[0:1]
	v_mul_f32_e32 v3, 0x37800000, v1
	v_cndmask_b32_e32 v1, v1, v3, vcc
	v_mov_b32_e32 v3, 0x260
	v_cmp_class_f32_e32 vcc, v0, v3
	v_mov_b32_e32 v2, 0
	v_cndmask_b32_e32 v0, v1, v0, vcc
	global_store_dword v2, v0, s[2:3]
	s_endpgm
.LBB8_19:
                                        ; implicit-def: $sgpr18_sgpr19
	s_branch .LBB8_2
.LBB8_20:
                                        ; implicit-def: $sgpr20_sgpr21
	s_branch .LBB8_5
	.section	.rodata,"a",@progbits
	.p2align	6, 0x0
	.amdhsa_kernel _ZN2at6native12_GLOBAL__N_122cdist_kernel_cuda_implIfNS1_5distsIfE3twoEEEvPT_PKS6_S9_S6_lllll
		.amdhsa_group_segment_fixed_size 1024
		.amdhsa_private_segment_fixed_size 0
		.amdhsa_kernarg_size 328
		.amdhsa_user_sgpr_count 6
		.amdhsa_user_sgpr_private_segment_buffer 1
		.amdhsa_user_sgpr_dispatch_ptr 0
		.amdhsa_user_sgpr_queue_ptr 0
		.amdhsa_user_sgpr_kernarg_segment_ptr 1
		.amdhsa_user_sgpr_dispatch_id 0
		.amdhsa_user_sgpr_flat_scratch_init 0
		.amdhsa_user_sgpr_private_segment_size 0
		.amdhsa_uses_dynamic_stack 0
		.amdhsa_system_sgpr_private_segment_wavefront_offset 0
		.amdhsa_system_sgpr_workgroup_id_x 1
		.amdhsa_system_sgpr_workgroup_id_y 0
		.amdhsa_system_sgpr_workgroup_id_z 0
		.amdhsa_system_sgpr_workgroup_info 0
		.amdhsa_system_vgpr_workitem_id 0
		.amdhsa_next_free_vgpr 14
		.amdhsa_next_free_sgpr 37
		.amdhsa_reserve_vcc 1
		.amdhsa_reserve_flat_scratch 0
		.amdhsa_float_round_mode_32 0
		.amdhsa_float_round_mode_16_64 0
		.amdhsa_float_denorm_mode_32 3
		.amdhsa_float_denorm_mode_16_64 3
		.amdhsa_dx10_clamp 1
		.amdhsa_ieee_mode 1
		.amdhsa_fp16_overflow 0
		.amdhsa_exception_fp_ieee_invalid_op 0
		.amdhsa_exception_fp_denorm_src 0
		.amdhsa_exception_fp_ieee_div_zero 0
		.amdhsa_exception_fp_ieee_overflow 0
		.amdhsa_exception_fp_ieee_underflow 0
		.amdhsa_exception_fp_ieee_inexact 0
		.amdhsa_exception_int_div_zero 0
	.end_amdhsa_kernel
	.section	.text._ZN2at6native12_GLOBAL__N_122cdist_kernel_cuda_implIfNS1_5distsIfE3twoEEEvPT_PKS6_S9_S6_lllll,"axG",@progbits,_ZN2at6native12_GLOBAL__N_122cdist_kernel_cuda_implIfNS1_5distsIfE3twoEEEvPT_PKS6_S9_S6_lllll,comdat
.Lfunc_end8:
	.size	_ZN2at6native12_GLOBAL__N_122cdist_kernel_cuda_implIfNS1_5distsIfE3twoEEEvPT_PKS6_S9_S6_lllll, .Lfunc_end8-_ZN2at6native12_GLOBAL__N_122cdist_kernel_cuda_implIfNS1_5distsIfE3twoEEEvPT_PKS6_S9_S6_lllll
                                        ; -- End function
	.set _ZN2at6native12_GLOBAL__N_122cdist_kernel_cuda_implIfNS1_5distsIfE3twoEEEvPT_PKS6_S9_S6_lllll.num_vgpr, 14
	.set _ZN2at6native12_GLOBAL__N_122cdist_kernel_cuda_implIfNS1_5distsIfE3twoEEEvPT_PKS6_S9_S6_lllll.num_agpr, 0
	.set _ZN2at6native12_GLOBAL__N_122cdist_kernel_cuda_implIfNS1_5distsIfE3twoEEEvPT_PKS6_S9_S6_lllll.numbered_sgpr, 37
	.set _ZN2at6native12_GLOBAL__N_122cdist_kernel_cuda_implIfNS1_5distsIfE3twoEEEvPT_PKS6_S9_S6_lllll.num_named_barrier, 0
	.set _ZN2at6native12_GLOBAL__N_122cdist_kernel_cuda_implIfNS1_5distsIfE3twoEEEvPT_PKS6_S9_S6_lllll.private_seg_size, 0
	.set _ZN2at6native12_GLOBAL__N_122cdist_kernel_cuda_implIfNS1_5distsIfE3twoEEEvPT_PKS6_S9_S6_lllll.uses_vcc, 1
	.set _ZN2at6native12_GLOBAL__N_122cdist_kernel_cuda_implIfNS1_5distsIfE3twoEEEvPT_PKS6_S9_S6_lllll.uses_flat_scratch, 0
	.set _ZN2at6native12_GLOBAL__N_122cdist_kernel_cuda_implIfNS1_5distsIfE3twoEEEvPT_PKS6_S9_S6_lllll.has_dyn_sized_stack, 0
	.set _ZN2at6native12_GLOBAL__N_122cdist_kernel_cuda_implIfNS1_5distsIfE3twoEEEvPT_PKS6_S9_S6_lllll.has_recursion, 0
	.set _ZN2at6native12_GLOBAL__N_122cdist_kernel_cuda_implIfNS1_5distsIfE3twoEEEvPT_PKS6_S9_S6_lllll.has_indirect_call, 0
	.section	.AMDGPU.csdata,"",@progbits
; Kernel info:
; codeLenInByte = 2340
; TotalNumSgprs: 41
; NumVgprs: 14
; ScratchSize: 0
; MemoryBound: 0
; FloatMode: 240
; IeeeMode: 1
; LDSByteSize: 1024 bytes/workgroup (compile time only)
; SGPRBlocks: 5
; VGPRBlocks: 3
; NumSGPRsForWavesPerEU: 41
; NumVGPRsForWavesPerEU: 14
; Occupancy: 10
; WaveLimiterHint : 0
; COMPUTE_PGM_RSRC2:SCRATCH_EN: 0
; COMPUTE_PGM_RSRC2:USER_SGPR: 6
; COMPUTE_PGM_RSRC2:TRAP_HANDLER: 0
; COMPUTE_PGM_RSRC2:TGID_X_EN: 1
; COMPUTE_PGM_RSRC2:TGID_Y_EN: 0
; COMPUTE_PGM_RSRC2:TGID_Z_EN: 0
; COMPUTE_PGM_RSRC2:TIDIG_COMP_CNT: 0
	.section	.text._ZN2at6native12_GLOBAL__N_122cdist_kernel_cuda_implIfNS1_5distsIfE3infEEEvPT_PKS6_S9_S6_lllll,"axG",@progbits,_ZN2at6native12_GLOBAL__N_122cdist_kernel_cuda_implIfNS1_5distsIfE3infEEEvPT_PKS6_S9_S6_lllll,comdat
	.globl	_ZN2at6native12_GLOBAL__N_122cdist_kernel_cuda_implIfNS1_5distsIfE3infEEEvPT_PKS6_S9_S6_lllll ; -- Begin function _ZN2at6native12_GLOBAL__N_122cdist_kernel_cuda_implIfNS1_5distsIfE3infEEEvPT_PKS6_S9_S6_lllll
	.p2align	8
	.type	_ZN2at6native12_GLOBAL__N_122cdist_kernel_cuda_implIfNS1_5distsIfE3infEEEvPT_PKS6_S9_S6_lllll,@function
_ZN2at6native12_GLOBAL__N_122cdist_kernel_cuda_implIfNS1_5distsIfE3infEEEvPT_PKS6_S9_S6_lllll: ; @_ZN2at6native12_GLOBAL__N_122cdist_kernel_cuda_implIfNS1_5distsIfE3infEEEvPT_PKS6_S9_S6_lllll
; %bb.0:
	s_load_dwordx8 s[8:15], s[4:5], 0x20
	s_load_dwordx2 s[16:17], s[4:5], 0x40
	s_mov_b32 s7, 0
	s_mov_b32 s0, s7
	s_waitcnt lgkmcnt(0)
	s_mov_b32 s1, s13
	s_cmp_lg_u64 s[0:1], 0
	s_cbranch_scc0 .LBB9_19
; %bb.1:
	s_ashr_i32 s0, s13, 31
	s_add_u32 s2, s12, s0
	s_mov_b32 s1, s0
	s_addc_u32 s3, s13, s0
	s_xor_b64 s[18:19], s[2:3], s[0:1]
	v_cvt_f32_u32_e32 v1, s18
	v_cvt_f32_u32_e32 v2, s19
	s_sub_u32 s22, 0, s18
	s_subb_u32 s23, 0, s19
	v_madmk_f32 v1, v2, 0x4f800000, v1
	v_rcp_f32_e32 v1, v1
	v_mul_f32_e32 v1, 0x5f7ffffc, v1
	v_mul_f32_e32 v2, 0x2f800000, v1
	v_trunc_f32_e32 v2, v2
	v_madmk_f32 v1, v2, 0xcf800000, v1
	v_cvt_u32_f32_e32 v2, v2
	v_cvt_u32_f32_e32 v1, v1
	v_readfirstlane_b32 s24, v2
	v_readfirstlane_b32 s20, v1
	s_mul_i32 s21, s22, s24
	s_mul_hi_u32 s26, s22, s20
	s_mul_i32 s25, s23, s20
	s_add_i32 s21, s26, s21
	s_add_i32 s21, s21, s25
	s_mul_i32 s27, s22, s20
	s_mul_i32 s26, s20, s21
	s_mul_hi_u32 s28, s20, s27
	s_mul_hi_u32 s25, s20, s21
	s_add_u32 s26, s28, s26
	s_addc_u32 s25, 0, s25
	s_mul_hi_u32 s29, s24, s27
	s_mul_i32 s27, s24, s27
	s_add_u32 s26, s26, s27
	s_mul_hi_u32 s28, s24, s21
	s_addc_u32 s25, s25, s29
	s_addc_u32 s26, s28, 0
	s_mul_i32 s21, s24, s21
	s_add_u32 s21, s25, s21
	s_addc_u32 s25, 0, s26
	s_add_u32 s26, s20, s21
	s_cselect_b64 s[20:21], -1, 0
	s_cmp_lg_u64 s[20:21], 0
	s_addc_u32 s24, s24, s25
	s_mul_i32 s20, s22, s24
	s_mul_hi_u32 s21, s22, s26
	s_add_i32 s20, s21, s20
	s_mul_i32 s23, s23, s26
	s_add_i32 s20, s20, s23
	s_mul_i32 s22, s22, s26
	s_mul_hi_u32 s23, s24, s22
	s_mul_i32 s25, s24, s22
	s_mul_i32 s28, s26, s20
	s_mul_hi_u32 s22, s26, s22
	s_mul_hi_u32 s27, s26, s20
	s_add_u32 s22, s22, s28
	s_addc_u32 s27, 0, s27
	s_add_u32 s22, s22, s25
	s_mul_hi_u32 s21, s24, s20
	s_addc_u32 s22, s27, s23
	s_addc_u32 s21, s21, 0
	s_mul_i32 s20, s24, s20
	s_add_u32 s20, s22, s20
	s_addc_u32 s22, 0, s21
	s_add_u32 s23, s26, s20
	s_cselect_b64 s[20:21], -1, 0
	s_cmp_lg_u64 s[20:21], 0
	s_addc_u32 s22, s24, s22
	s_add_u32 s20, s6, 0
	s_addc_u32 s21, 0, 0
	s_xor_b64 s[20:21], s[20:21], 0
	s_mul_i32 s25, s20, s22
	s_mul_hi_u32 s26, s20, s23
	s_mul_hi_u32 s24, s20, s22
	s_add_u32 s25, s26, s25
	s_addc_u32 s24, 0, s24
	s_mul_hi_u32 s27, s21, s23
	s_mul_i32 s23, s21, s23
	s_add_u32 s23, s25, s23
	s_mul_hi_u32 s26, s21, s22
	s_addc_u32 s23, s24, s27
	s_addc_u32 s24, s26, 0
	s_mul_i32 s22, s21, s22
	s_add_u32 s26, s23, s22
	s_addc_u32 s27, 0, s24
	s_mul_i32 s22, s18, s27
	s_mul_hi_u32 s23, s18, s26
	s_add_i32 s22, s23, s22
	s_mul_i32 s23, s19, s26
	s_add_i32 s28, s22, s23
	s_sub_i32 s24, s21, s28
	s_mul_i32 s22, s18, s26
	s_sub_u32 s20, s20, s22
	s_cselect_b64 s[22:23], -1, 0
	s_cmp_lg_u64 s[22:23], 0
	s_subb_u32 s29, s24, s19
	s_sub_u32 s30, s20, s18
	s_cselect_b64 s[24:25], -1, 0
	s_cmp_lg_u64 s[24:25], 0
	s_subb_u32 s24, s29, 0
	s_cmp_ge_u32 s24, s19
	s_cselect_b32 s25, -1, 0
	s_cmp_ge_u32 s30, s18
	s_cselect_b32 s29, -1, 0
	s_cmp_eq_u32 s24, s19
	s_cselect_b32 s24, s29, s25
	s_add_u32 s25, s26, 1
	s_addc_u32 s29, s27, 0
	s_add_u32 s30, s26, 2
	s_addc_u32 s31, s27, 0
	s_cmp_lg_u32 s24, 0
	s_cselect_b32 s24, s30, s25
	s_cselect_b32 s25, s31, s29
	s_cmp_lg_u64 s[22:23], 0
	s_subb_u32 s21, s21, s28
	s_cmp_ge_u32 s21, s19
	s_cselect_b32 s22, -1, 0
	s_cmp_ge_u32 s20, s18
	s_cselect_b32 s18, -1, 0
	s_cmp_eq_u32 s21, s19
	s_cselect_b32 s18, s18, s22
	s_cmp_lg_u32 s18, 0
	s_cselect_b32 s19, s25, s27
	s_cselect_b32 s18, s24, s26
	s_xor_b64 s[0:1], 0, s[0:1]
	s_xor_b64 s[18:19], s[18:19], s[0:1]
	s_sub_u32 s18, s18, s0
	s_subb_u32 s19, s19, s1
	s_cbranch_execnz .LBB9_3
.LBB9_2:
	v_cvt_f32_u32_e32 v1, s12
	s_sub_i32 s0, 0, s12
	s_mov_b32 s19, 0
	v_rcp_iflag_f32_e32 v1, v1
	v_mul_f32_e32 v1, 0x4f7ffffe, v1
	v_cvt_u32_f32_e32 v1, v1
	v_readfirstlane_b32 s1, v1
	s_mul_i32 s0, s0, s1
	s_mul_hi_u32 s0, s1, s0
	s_add_i32 s1, s1, s0
	s_mul_hi_u32 s0, s6, s1
	s_mul_i32 s2, s0, s12
	s_sub_i32 s2, s6, s2
	s_add_i32 s1, s0, 1
	s_sub_i32 s3, s2, s12
	s_cmp_ge_u32 s2, s12
	s_cselect_b32 s0, s1, s0
	s_cselect_b32 s2, s3, s2
	s_add_i32 s1, s0, 1
	s_cmp_ge_u32 s2, s12
	s_cselect_b32 s18, s1, s0
.LBB9_3:
	s_mul_i32 s0, s18, s13
	s_mul_hi_u32 s1, s18, s12
	s_add_i32 s0, s1, s0
	s_mul_i32 s1, s19, s12
	s_add_i32 s0, s0, s1
	s_mul_i32 s1, s18, s12
	s_sub_u32 s12, s6, s1
	s_subb_u32 s13, 0, s0
	s_or_b64 s[0:1], s[12:13], s[8:9]
	s_mov_b32 s0, 0
	s_cmp_lg_u64 s[0:1], 0
	s_cbranch_scc0 .LBB9_20
; %bb.4:
	s_ashr_i32 s0, s9, 31
	s_add_u32 s2, s8, s0
	s_mov_b32 s1, s0
	s_addc_u32 s3, s9, s0
	s_xor_b64 s[20:21], s[2:3], s[0:1]
	v_cvt_f32_u32_e32 v1, s20
	v_cvt_f32_u32_e32 v2, s21
	s_sub_u32 s24, 0, s20
	s_subb_u32 s25, 0, s21
	v_madmk_f32 v1, v2, 0x4f800000, v1
	v_rcp_f32_e32 v1, v1
	v_mul_f32_e32 v1, 0x5f7ffffc, v1
	v_mul_f32_e32 v2, 0x2f800000, v1
	v_trunc_f32_e32 v2, v2
	v_madmk_f32 v1, v2, 0xcf800000, v1
	v_cvt_u32_f32_e32 v2, v2
	v_cvt_u32_f32_e32 v1, v1
	v_readfirstlane_b32 s26, v2
	v_readfirstlane_b32 s22, v1
	s_mul_i32 s23, s24, s26
	s_mul_hi_u32 s28, s24, s22
	s_mul_i32 s27, s25, s22
	s_add_i32 s23, s28, s23
	s_add_i32 s23, s23, s27
	s_mul_i32 s29, s24, s22
	s_mul_i32 s28, s22, s23
	s_mul_hi_u32 s30, s22, s29
	s_mul_hi_u32 s27, s22, s23
	s_add_u32 s28, s30, s28
	s_addc_u32 s27, 0, s27
	s_mul_hi_u32 s31, s26, s29
	s_mul_i32 s29, s26, s29
	s_add_u32 s28, s28, s29
	s_mul_hi_u32 s30, s26, s23
	s_addc_u32 s27, s27, s31
	s_addc_u32 s28, s30, 0
	s_mul_i32 s23, s26, s23
	s_add_u32 s23, s27, s23
	s_addc_u32 s27, 0, s28
	s_add_u32 s28, s22, s23
	s_cselect_b64 s[22:23], -1, 0
	s_cmp_lg_u64 s[22:23], 0
	s_addc_u32 s26, s26, s27
	s_mul_i32 s22, s24, s26
	s_mul_hi_u32 s23, s24, s28
	s_add_i32 s22, s23, s22
	s_mul_i32 s25, s25, s28
	s_add_i32 s22, s22, s25
	s_mul_i32 s24, s24, s28
	s_mul_hi_u32 s25, s26, s24
	s_mul_i32 s27, s26, s24
	s_mul_i32 s30, s28, s22
	s_mul_hi_u32 s24, s28, s24
	s_mul_hi_u32 s29, s28, s22
	s_add_u32 s24, s24, s30
	s_addc_u32 s29, 0, s29
	s_add_u32 s24, s24, s27
	s_mul_hi_u32 s23, s26, s22
	s_addc_u32 s24, s29, s25
	s_addc_u32 s23, s23, 0
	s_mul_i32 s22, s26, s22
	s_add_u32 s22, s24, s22
	s_addc_u32 s24, 0, s23
	s_add_u32 s27, s28, s22
	s_cselect_b64 s[22:23], -1, 0
	s_cmp_lg_u64 s[22:23], 0
	s_addc_u32 s26, s26, s24
	s_ashr_i32 s22, s13, 31
	s_add_u32 s24, s12, s22
	s_mov_b32 s23, s22
	s_addc_u32 s25, s13, s22
	s_xor_b64 s[24:25], s[24:25], s[22:23]
	s_mul_i32 s29, s24, s26
	s_mul_hi_u32 s30, s24, s27
	s_mul_hi_u32 s28, s24, s26
	s_add_u32 s29, s30, s29
	s_addc_u32 s28, 0, s28
	s_mul_hi_u32 s31, s25, s27
	s_mul_i32 s27, s25, s27
	s_add_u32 s27, s29, s27
	s_mul_hi_u32 s30, s25, s26
	s_addc_u32 s27, s28, s31
	s_addc_u32 s28, s30, 0
	s_mul_i32 s26, s25, s26
	s_add_u32 s30, s27, s26
	s_addc_u32 s31, 0, s28
	s_mul_i32 s26, s20, s31
	s_mul_hi_u32 s27, s20, s30
	s_add_i32 s26, s27, s26
	s_mul_i32 s27, s21, s30
	s_add_i32 s33, s26, s27
	s_sub_i32 s28, s25, s33
	s_mul_i32 s26, s20, s30
	s_sub_u32 s24, s24, s26
	s_cselect_b64 s[26:27], -1, 0
	s_cmp_lg_u64 s[26:27], 0
	s_subb_u32 s34, s28, s21
	s_sub_u32 s35, s24, s20
	s_cselect_b64 s[28:29], -1, 0
	s_cmp_lg_u64 s[28:29], 0
	s_subb_u32 s28, s34, 0
	s_cmp_ge_u32 s28, s21
	s_cselect_b32 s29, -1, 0
	s_cmp_ge_u32 s35, s20
	s_cselect_b32 s34, -1, 0
	s_cmp_eq_u32 s28, s21
	s_cselect_b32 s28, s34, s29
	s_add_u32 s29, s30, 1
	s_addc_u32 s34, s31, 0
	s_add_u32 s35, s30, 2
	s_addc_u32 s36, s31, 0
	s_cmp_lg_u32 s28, 0
	s_cselect_b32 s28, s35, s29
	s_cselect_b32 s29, s36, s34
	s_cmp_lg_u64 s[26:27], 0
	s_subb_u32 s25, s25, s33
	s_cmp_ge_u32 s25, s21
	s_cselect_b32 s26, -1, 0
	s_cmp_ge_u32 s24, s20
	s_cselect_b32 s20, -1, 0
	s_cmp_eq_u32 s25, s21
	s_cselect_b32 s20, s20, s26
	s_cmp_lg_u32 s20, 0
	s_cselect_b32 s21, s29, s31
	s_cselect_b32 s20, s28, s30
	s_xor_b64 s[0:1], s[22:23], s[0:1]
	s_xor_b64 s[20:21], s[20:21], s[0:1]
	s_sub_u32 s20, s20, s0
	s_subb_u32 s21, s21, s1
	s_cbranch_execnz .LBB9_6
.LBB9_5:
	v_cvt_f32_u32_e32 v1, s8
	s_sub_i32 s0, 0, s8
	s_mov_b32 s21, 0
	v_rcp_iflag_f32_e32 v1, v1
	v_mul_f32_e32 v1, 0x4f7ffffe, v1
	v_cvt_u32_f32_e32 v1, v1
	v_readfirstlane_b32 s1, v1
	s_mul_i32 s0, s0, s1
	s_mul_hi_u32 s0, s1, s0
	s_add_i32 s1, s1, s0
	s_mul_hi_u32 s0, s12, s1
	s_mul_i32 s2, s0, s8
	s_sub_i32 s2, s12, s2
	s_add_i32 s1, s0, 1
	s_sub_i32 s3, s2, s8
	s_cmp_ge_u32 s2, s8
	s_cselect_b32 s0, s1, s0
	s_cselect_b32 s2, s3, s2
	s_add_i32 s1, s0, 1
	s_cmp_ge_u32 s2, s8
	s_cselect_b32 s20, s1, s0
.LBB9_6:
	s_load_dwordx4 s[0:3], s[4:5], 0x0
	s_load_dwordx2 s[22:23], s[4:5], 0x10
	s_load_dword s24, s[4:5], 0x54
	v_mov_b32_e32 v1, 0
	v_cmp_gt_i64_e32 vcc, s[10:11], v[0:1]
	s_and_saveexec_b64 s[4:5], vcc
	s_cbranch_execz .LBB9_10
; %bb.7:
	s_mul_i32 s15, s18, s15
	s_mul_hi_u32 s25, s18, s14
	s_add_i32 s15, s25, s15
	s_mul_i32 s25, s19, s14
	s_add_i32 s15, s15, s25
	s_mul_i32 s14, s18, s14
	s_lshl_b64 s[14:15], s[14:15], 2
	s_waitcnt lgkmcnt(0)
	s_add_u32 s14, s2, s14
	s_addc_u32 s15, s3, s15
	s_mul_i32 s2, s20, s11
	s_mul_hi_u32 s3, s20, s10
	s_add_i32 s2, s3, s2
	s_mul_i32 s3, s21, s10
	s_add_i32 s3, s2, s3
	s_mul_i32 s2, s20, s10
	s_lshl_b64 s[2:3], s[2:3], 2
	s_add_u32 s14, s14, s2
	s_addc_u32 s15, s15, s3
	s_lshl_b64 s[2:3], s[10:11], 2
	s_add_u32 s2, s14, s2
	s_mul_i32 s17, s18, s17
	s_mul_hi_u32 s25, s18, s16
	s_addc_u32 s3, s15, s3
	s_add_i32 s17, s25, s17
	s_mul_i32 s19, s19, s16
	s_add_i32 s17, s17, s19
	s_mul_i32 s16, s18, s16
	s_lshl_b64 s[16:17], s[16:17], 2
	s_add_u32 s16, s22, s16
	s_mul_i32 s9, s20, s9
	s_mul_hi_u32 s18, s20, s8
	s_addc_u32 s17, s23, s17
	s_add_i32 s9, s18, s9
	s_mul_i32 s18, s21, s8
	s_add_i32 s9, s9, s18
	s_mul_i32 s8, s20, s8
	s_sub_u32 s8, s12, s8
	s_subb_u32 s9, s13, s9
	s_mul_i32 s11, s8, s11
	s_mul_hi_u32 s12, s8, s10
	s_add_i32 s11, s12, s11
	s_mul_i32 s9, s9, s10
	s_add_i32 s9, s11, s9
	s_mul_i32 s8, s8, s10
	s_lshl_b64 s[8:9], s[8:9], 2
	v_lshlrev_b32_e32 v4, 2, v0
	s_add_u32 s10, s16, s8
	v_mov_b32_e32 v5, 0
	v_mov_b32_e32 v1, s15
	v_add_co_u32_e32 v2, vcc, s14, v4
	s_addc_u32 s12, s17, s9
	s_and_b32 s13, s24, 0xffff
	v_addc_co_u32_e32 v3, vcc, 0, v1, vcc
	s_lshl_b32 s11, s13, 2
	s_mov_b64 s[8:9], 0
	v_mov_b32_e32 v6, s12
	v_mov_b32_e32 v7, s15
	s_lshl_b32 s12, s13, 2
	v_mov_b32_e32 v1, v5
.LBB9_8:                                ; =>This Inner Loop Header: Depth=1
	v_add_co_u32_e32 v8, vcc, s10, v4
	v_addc_co_u32_e32 v9, vcc, v6, v5, vcc
	v_add_co_u32_e32 v10, vcc, s14, v4
	v_addc_co_u32_e32 v11, vcc, v7, v5, vcc
	global_load_dword v12, v[10:11], off
	global_load_dword v13, v[8:9], off
	v_add_co_u32_e32 v2, vcc, s12, v2
	v_addc_co_u32_e32 v3, vcc, 0, v3, vcc
	v_add_co_u32_e32 v4, vcc, s11, v4
	v_addc_co_u32_e32 v5, vcc, 0, v5, vcc
	v_cmp_le_u64_e32 vcc, s[2:3], v[2:3]
	s_or_b64 s[8:9], vcc, s[8:9]
	s_waitcnt vmcnt(0)
	v_sub_f32_e32 v8, v12, v13
	v_cmp_gt_f32_e64 s[16:17], |v8|, v1
	v_cndmask_b32_e64 v1, v1, |v8|, s[16:17]
	s_andn2_b64 exec, exec, s[8:9]
	s_cbranch_execnz .LBB9_8
; %bb.9:
	s_or_b64 exec, exec, s[8:9]
.LBB9_10:
	s_or_b64 exec, exec, s[4:5]
	v_mbcnt_lo_u32_b32 v2, -1, 0
	v_mbcnt_hi_u32_b32 v6, -1, v2
	v_mov_b32_e32 v2, 0x80
	v_lshl_or_b32 v2, v6, 2, v2
	ds_bpermute_b32 v3, v2, v1
	v_and_b32_e32 v9, 63, v6
	v_and_b32_e32 v8, 63, v0
	s_waitcnt lgkmcnt(0)
	s_barrier
	v_cmp_lt_f32_e32 vcc, v1, v3
	v_cndmask_b32_e32 v3, v1, v3, vcc
	v_cmp_gt_u32_e32 vcc, 48, v9
	v_cndmask_b32_e64 v1, 0, 16, vcc
	v_add_lshl_u32 v1, v1, v6, 2
	ds_bpermute_b32 v4, v1, v3
	s_waitcnt lgkmcnt(0)
	v_cmp_lt_f32_e32 vcc, v3, v4
	v_cndmask_b32_e32 v4, v3, v4, vcc
	v_cmp_gt_u32_e32 vcc, 56, v9
	v_cndmask_b32_e64 v3, 0, 8, vcc
	v_add_lshl_u32 v3, v3, v6, 2
	ds_bpermute_b32 v5, v3, v4
	s_waitcnt lgkmcnt(0)
	;; [unrolled: 7-line block ×4, first 2 shown]
	v_cmp_lt_f32_e32 vcc, v7, v10
	v_cndmask_b32_e32 v7, v7, v10, vcc
	v_cmp_ne_u32_e32 vcc, 63, v9
	v_addc_co_u32_e32 v6, vcc, 0, v6, vcc
	v_lshlrev_b32_e32 v6, 2, v6
	ds_bpermute_b32 v9, v6, v7
	v_cmp_eq_u32_e32 vcc, 0, v8
	s_and_saveexec_b64 s[2:3], vcc
	s_cbranch_execz .LBB9_12
; %bb.11:
	s_waitcnt lgkmcnt(0)
	v_cmp_lt_f32_e32 vcc, v7, v9
	v_cndmask_b32_e32 v7, v7, v9, vcc
	v_lshrrev_b32_e32 v9, 4, v0
	ds_write_b32 v9, v7
.LBB9_12:
	s_or_b64 exec, exec, s[2:3]
	s_and_b32 s2, 0xffff, s24
	s_lshr_b32 s2, s2, 6
	v_cmp_gt_u32_e32 vcc, s2, v0
	v_mov_b32_e32 v7, 0
	s_waitcnt lgkmcnt(0)
	s_barrier
	s_and_saveexec_b64 s[2:3], vcc
	s_cbranch_execnz .LBB9_16
; %bb.13:
	s_or_b64 exec, exec, s[2:3]
	v_cmp_gt_u32_e32 vcc, 64, v0
	s_and_saveexec_b64 s[2:3], vcc
	s_cbranch_execnz .LBB9_17
.LBB9_14:
	s_or_b64 exec, exec, s[2:3]
	v_cmp_eq_u32_e32 vcc, 0, v0
	s_and_saveexec_b64 s[2:3], vcc
	s_cbranch_execnz .LBB9_18
.LBB9_15:
	s_endpgm
.LBB9_16:
	v_lshlrev_b32_e32 v7, 2, v8
	ds_read_b32 v7, v7
	s_or_b64 exec, exec, s[2:3]
	v_cmp_gt_u32_e32 vcc, 64, v0
	s_and_saveexec_b64 s[2:3], vcc
	s_cbranch_execz .LBB9_14
.LBB9_17:
	s_waitcnt lgkmcnt(0)
	ds_bpermute_b32 v2, v2, v7
	s_waitcnt lgkmcnt(0)
	v_cmp_lt_f32_e32 vcc, v7, v2
	v_cndmask_b32_e32 v2, v7, v2, vcc
	ds_bpermute_b32 v1, v1, v2
	s_waitcnt lgkmcnt(0)
	v_cmp_lt_f32_e32 vcc, v2, v1
	v_cndmask_b32_e32 v1, v2, v1, vcc
	;; [unrolled: 4-line block ×6, first 2 shown]
	s_or_b64 exec, exec, s[2:3]
	v_cmp_eq_u32_e32 vcc, 0, v0
	s_and_saveexec_b64 s[2:3], vcc
	s_cbranch_execz .LBB9_15
.LBB9_18:
	s_lshl_b64 s[2:3], s[6:7], 2
	s_add_u32 s0, s0, s2
	s_addc_u32 s1, s1, s3
	v_mov_b32_e32 v0, 0
	s_waitcnt lgkmcnt(0)
	global_store_dword v0, v7, s[0:1]
	s_endpgm
.LBB9_19:
                                        ; implicit-def: $sgpr18_sgpr19
	s_branch .LBB9_2
.LBB9_20:
                                        ; implicit-def: $sgpr20_sgpr21
	s_branch .LBB9_5
	.section	.rodata,"a",@progbits
	.p2align	6, 0x0
	.amdhsa_kernel _ZN2at6native12_GLOBAL__N_122cdist_kernel_cuda_implIfNS1_5distsIfE3infEEEvPT_PKS6_S9_S6_lllll
		.amdhsa_group_segment_fixed_size 1024
		.amdhsa_private_segment_fixed_size 0
		.amdhsa_kernarg_size 328
		.amdhsa_user_sgpr_count 6
		.amdhsa_user_sgpr_private_segment_buffer 1
		.amdhsa_user_sgpr_dispatch_ptr 0
		.amdhsa_user_sgpr_queue_ptr 0
		.amdhsa_user_sgpr_kernarg_segment_ptr 1
		.amdhsa_user_sgpr_dispatch_id 0
		.amdhsa_user_sgpr_flat_scratch_init 0
		.amdhsa_user_sgpr_private_segment_size 0
		.amdhsa_uses_dynamic_stack 0
		.amdhsa_system_sgpr_private_segment_wavefront_offset 0
		.amdhsa_system_sgpr_workgroup_id_x 1
		.amdhsa_system_sgpr_workgroup_id_y 0
		.amdhsa_system_sgpr_workgroup_id_z 0
		.amdhsa_system_sgpr_workgroup_info 0
		.amdhsa_system_vgpr_workitem_id 0
		.amdhsa_next_free_vgpr 14
		.amdhsa_next_free_sgpr 37
		.amdhsa_reserve_vcc 1
		.amdhsa_reserve_flat_scratch 0
		.amdhsa_float_round_mode_32 0
		.amdhsa_float_round_mode_16_64 0
		.amdhsa_float_denorm_mode_32 3
		.amdhsa_float_denorm_mode_16_64 3
		.amdhsa_dx10_clamp 1
		.amdhsa_ieee_mode 1
		.amdhsa_fp16_overflow 0
		.amdhsa_exception_fp_ieee_invalid_op 0
		.amdhsa_exception_fp_denorm_src 0
		.amdhsa_exception_fp_ieee_div_zero 0
		.amdhsa_exception_fp_ieee_overflow 0
		.amdhsa_exception_fp_ieee_underflow 0
		.amdhsa_exception_fp_ieee_inexact 0
		.amdhsa_exception_int_div_zero 0
	.end_amdhsa_kernel
	.section	.text._ZN2at6native12_GLOBAL__N_122cdist_kernel_cuda_implIfNS1_5distsIfE3infEEEvPT_PKS6_S9_S6_lllll,"axG",@progbits,_ZN2at6native12_GLOBAL__N_122cdist_kernel_cuda_implIfNS1_5distsIfE3infEEEvPT_PKS6_S9_S6_lllll,comdat
.Lfunc_end9:
	.size	_ZN2at6native12_GLOBAL__N_122cdist_kernel_cuda_implIfNS1_5distsIfE3infEEEvPT_PKS6_S9_S6_lllll, .Lfunc_end9-_ZN2at6native12_GLOBAL__N_122cdist_kernel_cuda_implIfNS1_5distsIfE3infEEEvPT_PKS6_S9_S6_lllll
                                        ; -- End function
	.set _ZN2at6native12_GLOBAL__N_122cdist_kernel_cuda_implIfNS1_5distsIfE3infEEEvPT_PKS6_S9_S6_lllll.num_vgpr, 14
	.set _ZN2at6native12_GLOBAL__N_122cdist_kernel_cuda_implIfNS1_5distsIfE3infEEEvPT_PKS6_S9_S6_lllll.num_agpr, 0
	.set _ZN2at6native12_GLOBAL__N_122cdist_kernel_cuda_implIfNS1_5distsIfE3infEEEvPT_PKS6_S9_S6_lllll.numbered_sgpr, 37
	.set _ZN2at6native12_GLOBAL__N_122cdist_kernel_cuda_implIfNS1_5distsIfE3infEEEvPT_PKS6_S9_S6_lllll.num_named_barrier, 0
	.set _ZN2at6native12_GLOBAL__N_122cdist_kernel_cuda_implIfNS1_5distsIfE3infEEEvPT_PKS6_S9_S6_lllll.private_seg_size, 0
	.set _ZN2at6native12_GLOBAL__N_122cdist_kernel_cuda_implIfNS1_5distsIfE3infEEEvPT_PKS6_S9_S6_lllll.uses_vcc, 1
	.set _ZN2at6native12_GLOBAL__N_122cdist_kernel_cuda_implIfNS1_5distsIfE3infEEEvPT_PKS6_S9_S6_lllll.uses_flat_scratch, 0
	.set _ZN2at6native12_GLOBAL__N_122cdist_kernel_cuda_implIfNS1_5distsIfE3infEEEvPT_PKS6_S9_S6_lllll.has_dyn_sized_stack, 0
	.set _ZN2at6native12_GLOBAL__N_122cdist_kernel_cuda_implIfNS1_5distsIfE3infEEEvPT_PKS6_S9_S6_lllll.has_recursion, 0
	.set _ZN2at6native12_GLOBAL__N_122cdist_kernel_cuda_implIfNS1_5distsIfE3infEEEvPT_PKS6_S9_S6_lllll.has_indirect_call, 0
	.section	.AMDGPU.csdata,"",@progbits
; Kernel info:
; codeLenInByte = 2288
; TotalNumSgprs: 41
; NumVgprs: 14
; ScratchSize: 0
; MemoryBound: 0
; FloatMode: 240
; IeeeMode: 1
; LDSByteSize: 1024 bytes/workgroup (compile time only)
; SGPRBlocks: 5
; VGPRBlocks: 3
; NumSGPRsForWavesPerEU: 41
; NumVGPRsForWavesPerEU: 14
; Occupancy: 10
; WaveLimiterHint : 0
; COMPUTE_PGM_RSRC2:SCRATCH_EN: 0
; COMPUTE_PGM_RSRC2:USER_SGPR: 6
; COMPUTE_PGM_RSRC2:TRAP_HANDLER: 0
; COMPUTE_PGM_RSRC2:TGID_X_EN: 1
; COMPUTE_PGM_RSRC2:TGID_Y_EN: 0
; COMPUTE_PGM_RSRC2:TGID_Z_EN: 0
; COMPUTE_PGM_RSRC2:TIDIG_COMP_CNT: 0
	.section	.text._ZN2at6native12_GLOBAL__N_122pdist_kernel_cuda_implIdNS1_5distsIdE1pEEEvPT_PKS6_llS6_dd,"axG",@progbits,_ZN2at6native12_GLOBAL__N_122pdist_kernel_cuda_implIdNS1_5distsIdE1pEEEvPT_PKS6_llS6_dd,comdat
	.globl	_ZN2at6native12_GLOBAL__N_122pdist_kernel_cuda_implIdNS1_5distsIdE1pEEEvPT_PKS6_llS6_dd ; -- Begin function _ZN2at6native12_GLOBAL__N_122pdist_kernel_cuda_implIdNS1_5distsIdE1pEEEvPT_PKS6_llS6_dd
	.p2align	8
	.type	_ZN2at6native12_GLOBAL__N_122pdist_kernel_cuda_implIdNS1_5distsIdE1pEEEvPT_PKS6_llS6_dd,@function
_ZN2at6native12_GLOBAL__N_122pdist_kernel_cuda_implIdNS1_5distsIdE1pEEEvPT_PKS6_llS6_dd: ; @_ZN2at6native12_GLOBAL__N_122pdist_kernel_cuda_implIdNS1_5distsIdE1pEEEvPT_PKS6_llS6_dd
; %bb.0:
	s_load_dwordx8 s[12:19], s[4:5], 0x0
	s_load_dwordx8 s[20:27], s[4:5], 0x20
	s_load_dword s33, s[4:5], 0x44
	v_mov_b32_e32 v1, 0
	s_mov_b32 s7, 0
	s_waitcnt lgkmcnt(0)
	v_cmp_gt_i64_e32 vcc, s[18:19], v[0:1]
	v_mov_b32_e32 v1, 0
	v_mov_b32_e32 v2, 0
	s_and_saveexec_b64 s[4:5], vcc
	s_cbranch_execz .LBB10_4
; %bb.1:
	s_lshl_b64 s[0:1], s[6:7], 1
	v_cvt_f64_u32_e32 v[1:2], s1
	v_cvt_f64_u32_e32 v[3:4], s0
	s_mov_b32 s0, 0
	s_brev_b32 s1, 8
	v_ldexp_f64 v[1:2], v[1:2], 32
	v_mov_b32_e32 v5, 0x260
	s_movk_i32 s2, 0xffe0
	v_lshlrev_b32_e32 v11, 3, v0
	v_mov_b32_e32 v9, s15
	s_mov_b32 s10, 0x55555555
	s_mov_b32 s26, 0x3abe935a
	;; [unrolled: 1-line block ×3, first 2 shown]
	v_add_f64 v[1:2], v[1:2], v[3:4]
	s_mov_b32 s30, 0xcfa74449
	s_mov_b32 s34, 0x71bf3c30
	;; [unrolled: 1-line block ×7, first 2 shown]
	v_add_f64 v[1:2], s[24:25], -v[1:2]
	s_mov_b32 s24, 0x4222de17
	s_mov_b32 s46, 0xd5df274d
	s_mov_b32 s48, 0
	s_mov_b32 s50, 0x652b82fe
	s_mov_b32 s54, 0x6a5dcb37
	s_mov_b32 s56, 0x7c89e6b0
	s_mov_b32 s58, 0x14761f6e
	v_cmp_gt_f64_e32 vcc, s[0:1], v[1:2]
	s_mov_b32 s60, 0x1852b7b0
	s_mov_b32 s62, 0x11122322
	;; [unrolled: 1-line block ×7, first 2 shown]
	s_and_b64 s[0:1], vcc, exec
	s_cselect_b32 s0, 0x100, 0
	v_ldexp_f64 v[3:4], v[1:2], s0
	s_cselect_b32 s3, 0xffffff80, 0
	s_mov_b32 s0, 0
	s_mov_b32 s1, 0xc1f00000
	s_mov_b64 s[8:9], 0
	s_mov_b32 s11, 0x3fe55555
	s_mov_b32 s25, 0x3fbdee67
	;; [unrolled: 1-line block ×3, first 2 shown]
	v_rsq_f64_e32 v[1:2], v[3:4]
	v_cmp_class_f64_e32 vcc, v[3:4], v5
	s_mov_b32 s29, 0x3fc110ef
	s_mov_b32 s31, 0x3fc3b13b
	;; [unrolled: 1-line block ×9, first 2 shown]
	s_movk_i32 s80, 0x204
	s_mov_b32 s49, 0x7ff00000
	s_mov_b32 s51, 0x3ff71547
	;; [unrolled: 1-line block ×4, first 2 shown]
	v_mul_f64 v[6:7], v[3:4], v[1:2]
	v_mul_f64 v[12:13], v[1:2], 0.5
	v_mov_b32_e32 v1, 0
	v_mov_b32_e32 v2, 0
	s_mov_b32 s57, 0x3efa0199
	s_mov_b32 s59, 0x3f2a01a0
	;; [unrolled: 1-line block ×5, first 2 shown]
	v_fma_f64 v[14:15], -v[12:13], v[6:7], 0.5
	s_mov_b32 s67, 0x3fc55555
	s_mov_b32 s69, 0x3fe00000
	v_mov_b32_e32 v5, 0xfca7ab0c
	v_mov_b32_e32 v18, 0x7ff00000
	;; [unrolled: 1-line block ×3, first 2 shown]
	s_mov_b32 s71, 0x40900000
	s_mov_b32 s73, 0xc090cc00
	v_fma_f64 v[16:17], v[6:7], v[14:15], v[6:7]
	v_fma_f64 v[12:13], v[12:13], v[14:15], v[12:13]
	v_mov_b32_e32 v7, s15
	s_mov_b32 s15, 0xbfe55555
	v_mov_b32_e32 v6, 0x3e928af3
	v_fma_f64 v[14:15], -v[16:17], v[16:17], v[3:4]
	v_fma_f64 v[14:15], v[14:15], v[12:13], v[16:17]
	v_fma_f64 v[16:17], -v[14:15], v[14:15], v[3:4]
	v_fma_f64 v[12:13], v[16:17], v[12:13], v[14:15]
	v_mov_b32_e32 v17, 0x3ff00000
	v_ldexp_f64 v[12:13], v[12:13], s3
	v_cndmask_b32_e32 v4, v13, v4, vcc
	v_cndmask_b32_e32 v3, v12, v3, vcc
	v_add_f64 v[3:4], s[22:23], -v[3:4]
	v_add_co_u32_e32 v20, vcc, s14, v11
	v_addc_co_u32_e32 v21, vcc, 0, v7, vcc
	s_mov_b32 s22, 0x623fde64
	s_mov_b32 s23, 0x3ec71dee
	v_trunc_f64_e32 v[12:13], v[3:4]
	v_mov_b32_e32 v3, 0x968915a9
	v_mov_b32_e32 v4, 0x3fba6564
	v_ldexp_f64 v[14:15], v[12:13], s2
	v_floor_f64_e32 v[14:15], v[14:15]
	v_fma_f64 v[12:13], v[14:15], s[0:1], v[12:13]
	v_cvt_i32_f64_e32 v7, v[14:15]
	s_lshl_b64 s[0:1], s[18:19], 3
	v_mov_b32_e32 v10, s1
	v_readfirstlane_b32 s1, v7
	s_mul_i32 s2, s16, s1
	v_cvt_u32_f64_e32 v8, v[12:13]
	v_mul_lo_u32 v12, s18, v7
	v_mul_hi_u32 v14, s18, v8
	v_readfirstlane_b32 s3, v8
	v_mul_lo_u32 v13, s19, v8
	v_mul_lo_u32 v7, s18, v8
	s_add_u32 s52, s3, 1
	s_addc_u32 s75, s1, 0
	s_mul_hi_u32 s74, s16, s3
	s_mul_hi_u32 s76, s52, s3
	s_mul_i32 s1, s52, s1
	s_mul_i32 s77, s52, s3
	s_add_u32 s52, s52, s6
	v_add_u32_e32 v8, v14, v12
	s_mul_i32 s17, s17, s3
	s_mul_i32 s16, s16, s3
	;; [unrolled: 1-line block ×3, first 2 shown]
	s_addc_u32 s75, s75, 0
	s_add_i32 s2, s74, s2
	v_add_u32_e32 v8, v8, v13
	s_add_i32 s2, s2, s17
	v_lshlrev_b64 v[7:8], 3, v[7:8]
	s_sub_u32 s16, s52, s16
	s_subb_u32 s2, s75, s2
	s_add_i32 s1, s76, s1
	v_add_co_u32_e32 v12, vcc, s14, v7
	v_addc_co_u32_e32 v13, vcc, v9, v8, vcc
	s_add_i32 s1, s1, s3
	v_add_co_u32_e32 v9, vcc, s0, v12
	s_lshr_b32 s0, s1, 31
	s_add_u32 s0, s77, s0
	s_addc_u32 s1, s1, 0
	s_lshr_b64 s[0:1], s[0:1], 1
	s_add_u32 s0, s16, s0
	s_addc_u32 s1, s2, s1
	s_mul_hi_u32 s3, s18, s0
	s_mul_i32 s1, s18, s1
	v_addc_co_u32_e32 v10, vcc, v13, v10, vcc
	s_mul_i32 s14, s19, s0
	s_add_i32 s1, s3, s1
	v_add_co_u32_e32 v11, vcc, v12, v11
	s_and_b32 s2, s33, 0xffff
	s_mul_i32 s0, s18, s0
	s_add_i32 s1, s1, s14
	v_addc_co_u32_e32 v12, vcc, 0, v13, vcc
	s_lshl_b32 s81, s2, 3
	s_lshl_b32 s82, s2, 3
	s_lshl_b64 s[16:17], s[0:1], 3
	s_mov_b32 s19, 0xbc7abc9e
.LBB10_2:                               ; =>This Inner Loop Header: Depth=1
	v_add_co_u32_e32 v13, vcc, v20, v7
	v_addc_co_u32_e32 v14, vcc, v21, v8, vcc
	v_mov_b32_e32 v16, s17
	v_add_co_u32_e32 v15, vcc, s16, v20
	v_addc_co_u32_e32 v16, vcc, v21, v16, vcc
	global_load_dwordx2 v[13:14], v[13:14], off
	s_nop 0
	global_load_dwordx2 v[15:16], v[15:16], off
	v_mov_b32_e32 v22, s21
	v_mov_b32_e32 v23, s20
	s_mov_b32 s14, s10
	s_mov_b32 s52, s42
	;; [unrolled: 1-line block ×3, first 2 shown]
	s_waitcnt vmcnt(0)
	v_add_f64 v[15:16], v[13:14], -v[15:16]
	v_cmp_neq_f64_e64 vcc, |v[15:16]|, 1.0
	v_cndmask_b32_e32 v14, v17, v22, vcc
	v_cndmask_b32_e32 v13, 0, v23, vcc
	v_cmp_neq_f64_e32 vcc, 0, v[13:14]
	v_cmp_neq_f64_e64 s[2:3], v[13:14], |v[13:14]|
	v_cmp_gt_f64_e64 s[0:1], 0, v[13:14]
	v_cndmask_b32_e32 v16, v17, v16, vcc
	v_cndmask_b32_e32 v15, 0, v15, vcc
	v_frexp_mant_f64_e64 v[23:24], |v[15:16]|
	v_frexp_exp_i32_f64_e32 v25, v[15:16]
	v_cmp_eq_f64_e64 s[74:75], |v[15:16]|, 0
	v_cmp_lt_f64_e64 s[84:85], |v[15:16]|, 1.0
	v_cmp_class_f64_e64 s[76:77], v[15:16], s80
	v_cmp_gt_f64_e32 vcc, s[10:11], v[23:24]
	s_xor_b64 s[78:79], s[0:1], s[74:75]
	s_xor_b64 s[0:1], s[2:3], s[84:85]
	v_cndmask_b32_e64 v22, v18, 0, s[0:1]
	v_cndmask_b32_e64 v26, 0, 1, vcc
	v_ldexp_f64 v[23:24], v[23:24], v26
	v_subbrev_co_u32_e32 v27, vcc, 0, v25, vcc
	v_cvt_f64_i32_e32 v[27:28], v27
	v_mul_f64 v[31:32], v[27:28], s[42:43]
	v_add_f64 v[25:26], v[23:24], 1.0
	v_add_f64 v[29:30], v[23:24], -1.0
	v_fma_f64 v[37:38], v[27:28], s[42:43], -v[31:32]
	v_rcp_f64_e32 v[33:34], v[25:26]
	v_add_f64 v[35:36], v[25:26], -1.0
	v_fma_f64 v[27:28], v[27:28], s[44:45], v[37:38]
	v_add_f64 v[23:24], v[23:24], -v[35:36]
	v_add_f64 v[37:38], v[31:32], v[27:28]
	v_fma_f64 v[35:36], -v[25:26], v[33:34], 1.0
	v_add_f64 v[31:32], v[37:38], -v[31:32]
	v_fma_f64 v[33:34], v[35:36], v[33:34], v[33:34]
	v_add_f64 v[27:28], v[27:28], -v[31:32]
	v_fma_f64 v[35:36], -v[25:26], v[33:34], 1.0
	v_fma_f64 v[31:32], v[35:36], v[33:34], v[33:34]
	v_mul_f64 v[33:34], v[29:30], v[31:32]
	v_mul_f64 v[35:36], v[25:26], v[33:34]
	v_fma_f64 v[25:26], v[33:34], v[25:26], -v[35:36]
	v_fma_f64 v[23:24], v[33:34], v[23:24], v[25:26]
	v_add_f64 v[25:26], v[35:36], v[23:24]
	v_add_f64 v[39:40], v[29:30], -v[25:26]
	v_add_f64 v[35:36], v[25:26], -v[35:36]
	;; [unrolled: 1-line block ×5, first 2 shown]
	v_add_f64 v[23:24], v[23:24], v[25:26]
	v_add_f64 v[23:24], v[39:40], v[23:24]
	v_mul_f64 v[23:24], v[31:32], v[23:24]
	v_add_f64 v[25:26], v[33:34], v[23:24]
	v_add_f64 v[29:30], v[25:26], -v[33:34]
	v_mul_f64 v[31:32], v[25:26], v[25:26]
	v_ldexp_f64 v[33:34], v[25:26], 1
	v_add_f64 v[23:24], v[23:24], -v[29:30]
	v_fma_f64 v[29:30], v[25:26], v[25:26], -v[31:32]
	v_add_f64 v[35:36], v[23:24], v[23:24]
	v_ldexp_f64 v[39:40], v[23:24], 1
	v_fma_f64 v[29:30], v[25:26], v[35:36], v[29:30]
	v_add_f64 v[35:36], v[31:32], v[29:30]
	v_fma_f64 v[41:42], v[35:36], s[24:25], v[3:4]
	v_add_f64 v[31:32], v[35:36], -v[31:32]
	v_mul_f64 v[43:44], v[25:26], v[35:36]
	v_fma_f64 v[41:42], v[35:36], v[41:42], s[26:27]
	v_add_f64 v[29:30], v[29:30], -v[31:32]
	v_fma_f64 v[31:32], v[35:36], v[25:26], -v[43:44]
	v_fma_f64 v[41:42], v[35:36], v[41:42], s[28:29]
	v_fma_f64 v[23:24], v[35:36], v[23:24], v[31:32]
	v_fma_f64 v[31:32], v[35:36], v[41:42], s[30:31]
	v_fma_f64 v[23:24], v[29:30], v[25:26], v[23:24]
	v_fma_f64 v[25:26], v[35:36], v[31:32], s[34:35]
	v_add_f64 v[31:32], v[43:44], v[23:24]
	v_fma_f64 v[25:26], v[35:36], v[25:26], s[36:37]
	v_add_f64 v[41:42], v[31:32], -v[43:44]
	v_fma_f64 v[25:26], v[35:36], v[25:26], s[38:39]
	v_add_f64 v[23:24], v[23:24], -v[41:42]
	v_fma_f64 v[25:26], v[35:36], v[25:26], s[40:41]
	v_mul_f64 v[41:42], v[35:36], v[25:26]
	v_fma_f64 v[35:36], v[35:36], v[25:26], -v[41:42]
	v_fma_f64 v[25:26], v[29:30], v[25:26], v[35:36]
	v_add_f64 v[29:30], v[41:42], v[25:26]
	v_add_f64 v[35:36], v[29:30], s[10:11]
	v_add_f64 v[41:42], v[29:30], -v[41:42]
	v_add_f64 v[43:44], v[35:36], s[14:15]
	v_add_f64 v[25:26], v[25:26], -v[41:42]
	v_add_f64 v[29:30], v[29:30], -v[43:44]
	v_add_f64 v[25:26], v[25:26], s[46:47]
	v_add_f64 v[25:26], v[25:26], v[29:30]
	;; [unrolled: 1-line block ×3, first 2 shown]
	v_add_f64 v[35:36], v[35:36], -v[29:30]
	v_mul_f64 v[41:42], v[31:32], v[29:30]
	v_add_f64 v[25:26], v[25:26], v[35:36]
	v_fma_f64 v[35:36], v[31:32], v[29:30], -v[41:42]
	v_fma_f64 v[25:26], v[31:32], v[25:26], v[35:36]
	v_fma_f64 v[23:24], v[23:24], v[29:30], v[25:26]
	v_add_f64 v[25:26], v[41:42], v[23:24]
	v_add_f64 v[29:30], v[33:34], v[25:26]
	v_add_f64 v[31:32], v[25:26], -v[41:42]
	v_add_f64 v[33:34], v[29:30], -v[33:34]
	;; [unrolled: 1-line block ×4, first 2 shown]
	v_add_f64 v[23:24], v[39:40], v[23:24]
	v_add_f64 v[23:24], v[23:24], v[25:26]
	;; [unrolled: 1-line block ×4, first 2 shown]
	v_add_f64 v[29:30], v[25:26], -v[29:30]
	v_add_f64 v[33:34], v[31:32], -v[37:38]
	;; [unrolled: 1-line block ×4, first 2 shown]
	v_add_f64 v[35:36], v[27:28], v[23:24]
	v_add_f64 v[25:26], v[25:26], -v[33:34]
	v_add_f64 v[29:30], v[37:38], -v[29:30]
	;; [unrolled: 1-line block ×3, first 2 shown]
	v_add_f64 v[25:26], v[25:26], v[29:30]
	v_add_f64 v[29:30], v[35:36], -v[33:34]
	v_add_f64 v[23:24], v[23:24], -v[33:34]
	v_add_f64 v[25:26], v[35:36], v[25:26]
	v_add_f64 v[27:28], v[27:28], -v[29:30]
	v_add_f64 v[29:30], v[31:32], v[25:26]
	v_add_f64 v[23:24], v[23:24], v[27:28]
	v_add_f64 v[27:28], v[29:30], -v[31:32]
	v_add_f64 v[25:26], v[25:26], -v[27:28]
	v_add_f64 v[23:24], v[23:24], v[25:26]
	v_add_f64 v[25:26], v[29:30], v[23:24]
	v_add_f64 v[27:28], v[25:26], -v[29:30]
	v_mul_f64 v[29:30], v[13:14], v[25:26]
	v_add_f64 v[23:24], v[23:24], -v[27:28]
	v_fma_f64 v[25:26], v[13:14], v[25:26], -v[29:30]
	v_cmp_class_f64_e64 vcc, v[29:30], s80
	v_fma_f64 v[23:24], v[13:14], v[23:24], v[25:26]
	v_add_f64 v[25:26], v[29:30], v[23:24]
	v_cndmask_b32_e32 v28, v26, v30, vcc
	v_cndmask_b32_e32 v27, v25, v29, vcc
	v_mul_f64 v[31:32], v[27:28], s[50:51]
	v_add_f64 v[25:26], v[25:26], -v[29:30]
	v_cmp_neq_f64_e64 vcc, |v[27:28]|, s[48:49]
	v_cmp_nlt_f64_e64 s[0:1], s[70:71], v[27:28]
	v_cmp_ngt_f64_e64 s[2:3], s[72:73], v[27:28]
	v_rndne_f64_e32 v[31:32], v[31:32]
	v_add_f64 v[23:24], v[23:24], -v[25:26]
	v_fma_f64 v[33:34], v[31:32], s[52:53], v[27:28]
	v_cvt_i32_f64_e32 v29, v[31:32]
	v_cndmask_b32_e32 v24, 0, v24, vcc
	v_cndmask_b32_e32 v23, 0, v23, vcc
	s_and_b64 vcc, s[2:3], s[0:1]
	v_fma_f64 v[33:34], v[31:32], s[18:19], v[33:34]
	v_fma_f64 v[35:36], v[33:34], s[54:55], v[5:6]
	;; [unrolled: 1-line block ×10, first 2 shown]
	v_fma_f64 v[35:36], v[33:34], v[35:36], 1.0
	v_fma_f64 v[25:26], v[33:34], v[35:36], 1.0
	v_ldexp_f64 v[25:26], v[25:26], v29
	v_cndmask_b32_e32 v25, 0, v25, vcc
	v_cmp_neq_f64_e64 vcc, |v[15:16]|, 1.0
	v_cndmask_b32_e64 v26, v18, v26, s[0:1]
	v_cndmask_b32_e64 v26, 0, v26, s[2:3]
	v_fma_f64 v[23:24], v[25:26], v[23:24], v[25:26]
	v_cmp_class_f64_e64 s[0:1], v[13:14], s80
	v_add_co_u32_e64 v20, s[2:3], s81, v20
	v_cndmask_b32_e32 v22, v17, v22, vcc
	v_cmp_class_f64_e64 vcc, v[25:26], s80
	v_cndmask_b32_e32 v24, v24, v26, vcc
	v_and_b32_e32 v24, 0x7fffffff, v24
	v_cndmask_b32_e64 v26, v18, 0, s[78:79]
	v_cndmask_b32_e32 v23, v23, v25, vcc
	v_cndmask_b32_e64 v22, v24, v22, s[0:1]
	s_or_b64 vcc, s[74:75], s[76:77]
	v_cndmask_b32_e32 v22, v22, v26, vcc
	s_or_b64 s[0:1], vcc, s[0:1]
	v_cmp_o_f64_e64 vcc, |v[15:16]|, v[13:14]
	v_cndmask_b32_e64 v23, v23, 0, s[0:1]
	v_add_co_u32_e64 v11, s[0:1], s82, v11
	v_cndmask_b32_e32 v13, 0, v23, vcc
	v_cndmask_b32_e32 v14, v19, v22, vcc
	v_add_f64 v[1:2], v[1:2], v[13:14]
	v_addc_co_u32_e64 v12, vcc, 0, v12, s[0:1]
	v_cmp_ge_u64_e32 vcc, v[11:12], v[9:10]
	s_or_b64 s[8:9], vcc, s[8:9]
	v_addc_co_u32_e64 v21, vcc, 0, v21, s[2:3]
	s_andn2_b64 exec, exec, s[8:9]
	s_cbranch_execnz .LBB10_2
; %bb.3:
	s_or_b64 exec, exec, s[8:9]
.LBB10_4:
	s_or_b64 exec, exec, s[4:5]
	v_mbcnt_lo_u32_b32 v3, -1, 0
	v_mbcnt_hi_u32_b32 v10, -1, v3
	v_mov_b32_e32 v3, 0x80
	v_lshl_or_b32 v5, v10, 2, v3
	ds_bpermute_b32 v3, v5, v1
	ds_bpermute_b32 v4, v5, v2
	v_and_b32_e32 v12, 63, v10
	v_cmp_gt_u32_e32 vcc, 48, v12
	v_and_b32_e32 v11, 63, v0
	s_waitcnt lgkmcnt(0)
	v_add_f64 v[1:2], v[1:2], v[3:4]
	v_cndmask_b32_e64 v3, 0, 16, vcc
	v_add_lshl_u32 v6, v3, v10, 2
	v_cmp_gt_u32_e32 vcc, 56, v12
	s_barrier
	ds_bpermute_b32 v3, v6, v1
	ds_bpermute_b32 v4, v6, v2
	s_waitcnt lgkmcnt(0)
	v_add_f64 v[1:2], v[1:2], v[3:4]
	v_cndmask_b32_e64 v3, 0, 8, vcc
	v_add_lshl_u32 v7, v3, v10, 2
	v_cmp_gt_u32_e32 vcc, 60, v12
	ds_bpermute_b32 v3, v7, v1
	ds_bpermute_b32 v4, v7, v2
	s_waitcnt lgkmcnt(0)
	v_add_f64 v[1:2], v[1:2], v[3:4]
	v_cndmask_b32_e64 v3, 0, 4, vcc
	v_add_lshl_u32 v8, v3, v10, 2
	v_cmp_gt_u32_e32 vcc, 62, v12
	ds_bpermute_b32 v3, v8, v1
	ds_bpermute_b32 v4, v8, v2
	s_waitcnt lgkmcnt(0)
	v_add_f64 v[1:2], v[1:2], v[3:4]
	v_cndmask_b32_e64 v3, 0, 2, vcc
	v_add_lshl_u32 v9, v3, v10, 2
	v_cmp_ne_u32_e32 vcc, 63, v12
	ds_bpermute_b32 v3, v9, v1
	ds_bpermute_b32 v4, v9, v2
	s_waitcnt lgkmcnt(0)
	v_add_f64 v[1:2], v[1:2], v[3:4]
	v_addc_co_u32_e32 v3, vcc, 0, v10, vcc
	v_lshlrev_b32_e32 v10, 2, v3
	v_cmp_eq_u32_e32 vcc, 0, v11
	ds_bpermute_b32 v3, v10, v1
	ds_bpermute_b32 v4, v10, v2
	s_and_saveexec_b64 s[0:1], vcc
	s_cbranch_execz .LBB10_6
; %bb.5:
	s_waitcnt lgkmcnt(0)
	v_add_f64 v[1:2], v[1:2], v[3:4]
	v_lshrrev_b32_e32 v3, 3, v0
	ds_write_b64 v3, v[1:2]
.LBB10_6:
	s_or_b64 exec, exec, s[0:1]
	s_and_b32 s0, 0xffff, s33
	s_lshr_b32 s0, s0, 6
	s_waitcnt lgkmcnt(1)
	v_mov_b32_e32 v2, 0
	v_mov_b32_e32 v3, 0
	v_cmp_gt_u32_e32 vcc, s0, v0
	s_waitcnt lgkmcnt(0)
	s_barrier
	s_and_saveexec_b64 s[0:1], vcc
	s_cbranch_execnz .LBB10_10
; %bb.7:
	s_or_b64 exec, exec, s[0:1]
	v_cmp_gt_u32_e32 vcc, 64, v0
	s_and_saveexec_b64 s[0:1], vcc
	s_cbranch_execnz .LBB10_11
.LBB10_8:
	s_or_b64 exec, exec, s[0:1]
	v_cmp_eq_u32_e32 vcc, 0, v0
	s_and_saveexec_b64 s[0:1], vcc
	s_cbranch_execnz .LBB10_12
.LBB10_9:
	s_endpgm
.LBB10_10:
	v_lshlrev_b32_e32 v1, 3, v11
	ds_read_b64 v[2:3], v1
	s_or_b64 exec, exec, s[0:1]
	v_cmp_gt_u32_e32 vcc, 64, v0
	s_and_saveexec_b64 s[0:1], vcc
	s_cbranch_execz .LBB10_8
.LBB10_11:
	s_waitcnt lgkmcnt(0)
	ds_bpermute_b32 v4, v5, v2
	ds_bpermute_b32 v5, v5, v3
	s_waitcnt lgkmcnt(0)
	v_add_f64 v[1:2], v[2:3], v[4:5]
	ds_bpermute_b32 v3, v6, v1
	ds_bpermute_b32 v4, v6, v2
	s_waitcnt lgkmcnt(0)
	v_add_f64 v[1:2], v[1:2], v[3:4]
	;; [unrolled: 4-line block ×6, first 2 shown]
	s_or_b64 exec, exec, s[0:1]
	v_cmp_eq_u32_e32 vcc, 0, v0
	s_and_saveexec_b64 s[0:1], vcc
	s_cbranch_execz .LBB10_9
.LBB10_12:
	v_div_scale_f64 v[0:1], s[0:1], s[20:21], s[20:21], 1.0
	s_mov_b32 s1, 0x3fe55555
	s_mov_b32 s0, 0x55555555
	;; [unrolled: 1-line block ×4, first 2 shown]
	s_movk_i32 s18, 0x204
	s_mov_b32 s4, 0x652b82fe
	s_mov_b32 s5, 0x3ff71547
	s_brev_b32 s19, -2
	v_rcp_f64_e32 v[4:5], v[0:1]
	v_fma_f64 v[6:7], -v[0:1], v[4:5], 1.0
	v_fma_f64 v[4:5], v[4:5], v[6:7], v[4:5]
	v_div_scale_f64 v[6:7], vcc, 1.0, s[20:21], 1.0
	v_fma_f64 v[8:9], -v[0:1], v[4:5], 1.0
	v_fma_f64 v[4:5], v[4:5], v[8:9], v[4:5]
	v_mul_f64 v[8:9], v[6:7], v[4:5]
	v_fma_f64 v[0:1], -v[0:1], v[8:9], v[6:7]
	v_div_fmas_f64 v[0:1], v[0:1], v[4:5], v[8:9]
	s_waitcnt lgkmcnt(0)
	v_cmp_neq_f64_e32 vcc, 1.0, v[2:3]
	v_mov_b32_e32 v8, 0x3ff00000
	v_div_fixup_f64 v[0:1], v[0:1], s[20:21], 1.0
	v_cndmask_b32_e32 v1, v8, v1, vcc
	v_cndmask_b32_e32 v0, 0, v0, vcc
	v_cmp_neq_f64_e32 vcc, 0, v[0:1]
	v_cmp_neq_f64_e64 s[10:11], v[0:1], |v[0:1]|
	v_cndmask_b32_e32 v3, v8, v3, vcc
	v_cndmask_b32_e32 v2, 0, v2, vcc
	v_frexp_mant_f64_e64 v[4:5], |v[2:3]|
	v_cmp_lt_f64_e64 s[14:15], |v[2:3]|, 1.0
	v_cmp_class_f64_e64 s[16:17], v[2:3], s18
	v_cmp_gt_f64_e32 vcc, s[0:1], v[4:5]
	v_cndmask_b32_e64 v6, 0, 1, vcc
	v_ldexp_f64 v[4:5], v[4:5], v6
	v_add_f64 v[6:7], v[4:5], 1.0
	v_add_f64 v[13:14], v[4:5], -1.0
	v_rcp_f64_e32 v[9:10], v[6:7]
	v_add_f64 v[15:16], v[6:7], -1.0
	v_add_f64 v[4:5], v[4:5], -v[15:16]
	v_fma_f64 v[11:12], -v[6:7], v[9:10], 1.0
	v_fma_f64 v[9:10], v[11:12], v[9:10], v[9:10]
	v_fma_f64 v[11:12], -v[6:7], v[9:10], 1.0
	v_fma_f64 v[9:10], v[11:12], v[9:10], v[9:10]
	v_mul_f64 v[11:12], v[13:14], v[9:10]
	v_mul_f64 v[17:18], v[6:7], v[11:12]
	v_fma_f64 v[6:7], v[11:12], v[6:7], -v[17:18]
	v_fma_f64 v[4:5], v[11:12], v[4:5], v[6:7]
	v_add_f64 v[6:7], v[17:18], v[4:5]
	v_add_f64 v[15:16], v[13:14], -v[6:7]
	v_add_f64 v[17:18], v[6:7], -v[17:18]
	;; [unrolled: 1-line block ×5, first 2 shown]
	v_add_f64 v[4:5], v[4:5], v[6:7]
	v_add_f64 v[4:5], v[15:16], v[4:5]
	v_mov_b32_e32 v15, 0x968915a9
	v_mov_b32_e32 v16, 0x3fba6564
	v_mul_f64 v[4:5], v[9:10], v[4:5]
	v_add_f64 v[6:7], v[11:12], v[4:5]
	v_add_f64 v[9:10], v[6:7], -v[11:12]
	v_mul_f64 v[11:12], v[6:7], v[6:7]
	v_add_f64 v[4:5], v[4:5], -v[9:10]
	v_fma_f64 v[9:10], v[6:7], v[6:7], -v[11:12]
	v_add_f64 v[13:14], v[4:5], v[4:5]
	v_fma_f64 v[9:10], v[6:7], v[13:14], v[9:10]
	v_add_f64 v[13:14], v[11:12], v[9:10]
	v_fma_f64 v[15:16], v[13:14], s[2:3], v[15:16]
	s_mov_b32 s2, 0x3abe935a
	s_mov_b32 s3, 0x3fbe25e4
	v_add_f64 v[11:12], v[13:14], -v[11:12]
	v_mul_f64 v[21:22], v[6:7], v[13:14]
	v_fma_f64 v[15:16], v[13:14], v[15:16], s[2:3]
	s_mov_b32 s2, 0x47e6c9c2
	s_mov_b32 s3, 0x3fc110ef
	v_add_f64 v[9:10], v[9:10], -v[11:12]
	v_fma_f64 v[15:16], v[13:14], v[15:16], s[2:3]
	s_mov_b32 s2, 0xcfa74449
	s_mov_b32 s3, 0x3fc3b13b
	v_fma_f64 v[15:16], v[13:14], v[15:16], s[2:3]
	s_mov_b32 s2, 0x71bf3c30
	s_mov_b32 s3, 0x3fc745d1
	;; [unrolled: 3-line block ×6, first 2 shown]
	v_mul_f64 v[17:18], v[13:14], v[15:16]
	v_fma_f64 v[11:12], v[13:14], v[15:16], -v[17:18]
	v_fma_f64 v[11:12], v[9:10], v[15:16], v[11:12]
	v_add_f64 v[15:16], v[17:18], v[11:12]
	v_add_f64 v[19:20], v[15:16], s[0:1]
	v_add_f64 v[17:18], v[15:16], -v[17:18]
	s_mov_b32 s1, 0xbfe55555
	v_add_f64 v[23:24], v[19:20], s[0:1]
	v_add_f64 v[11:12], v[11:12], -v[17:18]
	v_fma_f64 v[17:18], v[13:14], v[6:7], -v[21:22]
	s_mov_b32 s0, 0xd5df274d
	s_mov_b32 s1, 0x3c8543b0
	v_add_f64 v[15:16], v[15:16], -v[23:24]
	v_add_f64 v[11:12], v[11:12], s[0:1]
	v_fma_f64 v[13:14], v[13:14], v[4:5], v[17:18]
	s_mov_b32 s1, 0x3fe62e42
	s_mov_b32 s0, 0xfefa39ef
	v_ldexp_f64 v[4:5], v[4:5], 1
	v_add_f64 v[11:12], v[11:12], v[15:16]
	v_fma_f64 v[9:10], v[9:10], v[6:7], v[13:14]
	v_ldexp_f64 v[6:7], v[6:7], 1
	v_add_f64 v[13:14], v[19:20], v[11:12]
	v_add_f64 v[15:16], v[21:22], v[9:10]
	v_add_f64 v[17:18], v[19:20], -v[13:14]
	v_mul_f64 v[19:20], v[15:16], v[13:14]
	v_add_f64 v[21:22], v[15:16], -v[21:22]
	v_add_f64 v[11:12], v[11:12], v[17:18]
	v_fma_f64 v[17:18], v[15:16], v[13:14], -v[19:20]
	v_add_f64 v[9:10], v[9:10], -v[21:22]
	v_fma_f64 v[11:12], v[15:16], v[11:12], v[17:18]
	v_fma_f64 v[9:10], v[9:10], v[13:14], v[11:12]
	v_frexp_exp_i32_f64_e32 v13, v[2:3]
	v_add_f64 v[11:12], v[19:20], v[9:10]
	v_subbrev_co_u32_e32 v17, vcc, 0, v13, vcc
	v_cvt_f64_i32_e32 v[17:18], v17
	v_add_f64 v[13:14], v[6:7], v[11:12]
	v_add_f64 v[15:16], v[11:12], -v[19:20]
	v_mul_f64 v[19:20], v[17:18], s[0:1]
	v_add_f64 v[6:7], v[13:14], -v[6:7]
	v_add_f64 v[9:10], v[9:10], -v[15:16]
	v_fma_f64 v[15:16], v[17:18], s[0:1], -v[19:20]
	s_mov_b32 s1, 0xbfe62e42
	v_add_f64 v[6:7], v[11:12], -v[6:7]
	v_add_f64 v[4:5], v[4:5], v[9:10]
	v_fma_f64 v[9:10], v[17:18], s[2:3], v[15:16]
	s_mov_b32 s3, 0xbc7abc9e
	v_add_f64 v[4:5], v[4:5], v[6:7]
	v_add_f64 v[6:7], v[19:20], v[9:10]
	;; [unrolled: 1-line block ×3, first 2 shown]
	v_add_f64 v[19:20], v[6:7], -v[19:20]
	v_add_f64 v[15:16], v[6:7], v[11:12]
	v_add_f64 v[13:14], v[11:12], -v[13:14]
	v_add_f64 v[9:10], v[9:10], -v[19:20]
	v_mov_b32_e32 v19, 0x7ff00000
	v_add_f64 v[17:18], v[15:16], -v[6:7]
	v_add_f64 v[4:5], v[4:5], -v[13:14]
	;; [unrolled: 1-line block ×4, first 2 shown]
	v_add_f64 v[13:14], v[9:10], v[4:5]
	v_add_f64 v[6:7], v[6:7], -v[21:22]
	v_add_f64 v[6:7], v[11:12], v[6:7]
	v_add_f64 v[11:12], v[13:14], -v[9:10]
	;; [unrolled: 2-line block ×3, first 2 shown]
	v_add_f64 v[4:5], v[4:5], -v[11:12]
	v_add_f64 v[17:18], v[15:16], v[6:7]
	v_add_f64 v[9:10], v[9:10], -v[13:14]
	v_add_f64 v[11:12], v[17:18], -v[15:16]
	v_add_f64 v[4:5], v[4:5], v[9:10]
	v_add_f64 v[6:7], v[6:7], -v[11:12]
	v_add_f64 v[4:5], v[4:5], v[6:7]
	v_add_f64 v[6:7], v[17:18], v[4:5]
	v_add_f64 v[9:10], v[6:7], -v[17:18]
	v_mul_f64 v[11:12], v[0:1], v[6:7]
	v_mov_b32_e32 v17, 0xfca7ab0c
	v_mov_b32_e32 v18, 0x3e928af3
	v_add_f64 v[4:5], v[4:5], -v[9:10]
	v_fma_f64 v[6:7], v[0:1], v[6:7], -v[11:12]
	v_cmp_class_f64_e64 vcc, v[11:12], s18
	v_fma_f64 v[4:5], v[0:1], v[4:5], v[6:7]
	v_add_f64 v[6:7], v[11:12], v[4:5]
	v_cndmask_b32_e32 v10, v7, v12, vcc
	v_cndmask_b32_e32 v9, v6, v11, vcc
	v_mul_f64 v[13:14], v[9:10], s[4:5]
	v_add_f64 v[6:7], v[6:7], -v[11:12]
	s_mov_b32 s4, 0
	s_mov_b32 s5, 0xc090cc00
	v_rndne_f64_e32 v[13:14], v[13:14]
	v_add_f64 v[4:5], v[4:5], -v[6:7]
	v_fma_f64 v[15:16], v[13:14], s[0:1], v[9:10]
	s_mov_b32 s0, 0x6a5dcb37
	s_mov_b32 s1, 0x3e5ade15
	v_cvt_i32_f64_e32 v11, v[13:14]
	v_fma_f64 v[15:16], v[13:14], s[2:3], v[15:16]
	s_mov_b32 s2, 0
	s_mov_b32 s3, 0x40900000
	v_trunc_f64_e32 v[13:14], v[0:1]
	v_fma_f64 v[17:18], v[15:16], s[0:1], v[17:18]
	s_mov_b32 s0, 0x623fde64
	s_mov_b32 s1, 0x3ec71dee
	v_fma_f64 v[17:18], v[15:16], v[17:18], s[0:1]
	s_mov_b32 s0, 0x7c89e6b0
	s_mov_b32 s1, 0x3efa0199
	;; [unrolled: 3-line block ×9, first 2 shown]
	v_cmp_neq_f64_e64 vcc, |v[9:10]|, s[0:1]
	v_cmp_nlt_f64_e64 s[0:1], s[2:3], v[9:10]
	v_cmp_ngt_f64_e64 s[2:3], s[4:5], v[9:10]
	v_cmp_eq_f64_e64 s[4:5], v[13:14], v[0:1]
	v_mov_b32_e32 v9, 0x7ff80000
	v_fma_f64 v[17:18], v[15:16], v[17:18], 1.0
	v_cndmask_b32_e32 v5, 0, v5, vcc
	v_cndmask_b32_e32 v4, 0, v4, vcc
	s_and_b64 vcc, s[2:3], s[0:1]
	v_fma_f64 v[15:16], v[15:16], v[17:18], 1.0
	v_mul_f64 v[17:18], v[0:1], 0.5
	v_ldexp_f64 v[11:12], v[15:16], v11
	v_trunc_f64_e32 v[15:16], v[17:18]
	v_cndmask_b32_e64 v6, v19, v12, s[0:1]
	v_cndmask_b32_e64 v7, 0, v6, s[2:3]
	v_cndmask_b32_e32 v6, 0, v11, vcc
	v_fma_f64 v[4:5], v[6:7], v[4:5], v[6:7]
	v_cmp_class_f64_e64 vcc, v[6:7], s18
	v_cmp_neq_f64_e64 s[8:9], v[15:16], v[17:18]
	v_cmp_gt_f64_e64 s[0:1], 0, v[0:1]
	v_cndmask_b32_e32 v4, v4, v6, vcc
	v_cndmask_b32_e32 v5, v5, v7, vcc
	v_cmp_gt_f64_e32 vcc, 0, v[2:3]
	s_and_b64 s[2:3], s[4:5], s[8:9]
	v_cndmask_b32_e64 v10, v8, v3, s[2:3]
	v_bfi_b32 v5, s19, v5, v10
	v_cndmask_b32_e64 v6, v9, v5, s[4:5]
	v_cndmask_b32_e64 v7, 0, v4, s[4:5]
	v_cmp_eq_f64_e64 s[4:5], 0, v[2:3]
	s_xor_b64 s[8:9], s[10:11], s[14:15]
	v_cndmask_b32_e64 v10, v19, 0, s[8:9]
	v_cmp_neq_f64_e64 s[8:9], |v[2:3]|, 1.0
	v_cndmask_b32_e32 v4, v4, v7, vcc
	v_cndmask_b32_e32 v5, v5, v6, vcc
	v_cmp_class_f64_e64 vcc, v[0:1], s18
	v_cndmask_b32_e64 v7, 0, v3, s[2:3]
	s_xor_b64 s[0:1], s[0:1], s[4:5]
	v_cndmask_b32_e64 v6, v19, 0, s[0:1]
	v_bfi_b32 v6, s19, v6, v7
	v_cndmask_b32_e64 v8, v8, v10, s[8:9]
	s_or_b64 s[0:1], s[4:5], s[16:17]
	v_cndmask_b32_e32 v5, v5, v8, vcc
	v_cndmask_b32_e64 v5, v5, v6, s[0:1]
	s_or_b64 s[0:1], s[0:1], vcc
	v_cmp_o_f64_e32 vcc, v[2:3], v[0:1]
	v_cndmask_b32_e64 v4, v4, 0, s[0:1]
	s_lshl_b64 s[0:1], s[6:7], 3
	s_add_u32 s0, s12, s0
	s_addc_u32 s1, s13, s1
	v_mov_b32_e32 v2, 0
	v_cndmask_b32_e32 v0, 0, v4, vcc
	v_cndmask_b32_e32 v1, v9, v5, vcc
	global_store_dwordx2 v2, v[0:1], s[0:1]
	s_endpgm
	.section	.rodata,"a",@progbits
	.p2align	6, 0x0
	.amdhsa_kernel _ZN2at6native12_GLOBAL__N_122pdist_kernel_cuda_implIdNS1_5distsIdE1pEEEvPT_PKS6_llS6_dd
		.amdhsa_group_segment_fixed_size 2048
		.amdhsa_private_segment_fixed_size 0
		.amdhsa_kernarg_size 312
		.amdhsa_user_sgpr_count 6
		.amdhsa_user_sgpr_private_segment_buffer 1
		.amdhsa_user_sgpr_dispatch_ptr 0
		.amdhsa_user_sgpr_queue_ptr 0
		.amdhsa_user_sgpr_kernarg_segment_ptr 1
		.amdhsa_user_sgpr_dispatch_id 0
		.amdhsa_user_sgpr_flat_scratch_init 0
		.amdhsa_user_sgpr_private_segment_size 0
		.amdhsa_uses_dynamic_stack 0
		.amdhsa_system_sgpr_private_segment_wavefront_offset 0
		.amdhsa_system_sgpr_workgroup_id_x 1
		.amdhsa_system_sgpr_workgroup_id_y 0
		.amdhsa_system_sgpr_workgroup_id_z 0
		.amdhsa_system_sgpr_workgroup_info 0
		.amdhsa_system_vgpr_workitem_id 0
		.amdhsa_next_free_vgpr 45
		.amdhsa_next_free_sgpr 86
		.amdhsa_reserve_vcc 1
		.amdhsa_reserve_flat_scratch 0
		.amdhsa_float_round_mode_32 0
		.amdhsa_float_round_mode_16_64 0
		.amdhsa_float_denorm_mode_32 3
		.amdhsa_float_denorm_mode_16_64 3
		.amdhsa_dx10_clamp 1
		.amdhsa_ieee_mode 1
		.amdhsa_fp16_overflow 0
		.amdhsa_exception_fp_ieee_invalid_op 0
		.amdhsa_exception_fp_denorm_src 0
		.amdhsa_exception_fp_ieee_div_zero 0
		.amdhsa_exception_fp_ieee_overflow 0
		.amdhsa_exception_fp_ieee_underflow 0
		.amdhsa_exception_fp_ieee_inexact 0
		.amdhsa_exception_int_div_zero 0
	.end_amdhsa_kernel
	.section	.text._ZN2at6native12_GLOBAL__N_122pdist_kernel_cuda_implIdNS1_5distsIdE1pEEEvPT_PKS6_llS6_dd,"axG",@progbits,_ZN2at6native12_GLOBAL__N_122pdist_kernel_cuda_implIdNS1_5distsIdE1pEEEvPT_PKS6_llS6_dd,comdat
.Lfunc_end10:
	.size	_ZN2at6native12_GLOBAL__N_122pdist_kernel_cuda_implIdNS1_5distsIdE1pEEEvPT_PKS6_llS6_dd, .Lfunc_end10-_ZN2at6native12_GLOBAL__N_122pdist_kernel_cuda_implIdNS1_5distsIdE1pEEEvPT_PKS6_llS6_dd
                                        ; -- End function
	.set _ZN2at6native12_GLOBAL__N_122pdist_kernel_cuda_implIdNS1_5distsIdE1pEEEvPT_PKS6_llS6_dd.num_vgpr, 45
	.set _ZN2at6native12_GLOBAL__N_122pdist_kernel_cuda_implIdNS1_5distsIdE1pEEEvPT_PKS6_llS6_dd.num_agpr, 0
	.set _ZN2at6native12_GLOBAL__N_122pdist_kernel_cuda_implIdNS1_5distsIdE1pEEEvPT_PKS6_llS6_dd.numbered_sgpr, 86
	.set _ZN2at6native12_GLOBAL__N_122pdist_kernel_cuda_implIdNS1_5distsIdE1pEEEvPT_PKS6_llS6_dd.num_named_barrier, 0
	.set _ZN2at6native12_GLOBAL__N_122pdist_kernel_cuda_implIdNS1_5distsIdE1pEEEvPT_PKS6_llS6_dd.private_seg_size, 0
	.set _ZN2at6native12_GLOBAL__N_122pdist_kernel_cuda_implIdNS1_5distsIdE1pEEEvPT_PKS6_llS6_dd.uses_vcc, 1
	.set _ZN2at6native12_GLOBAL__N_122pdist_kernel_cuda_implIdNS1_5distsIdE1pEEEvPT_PKS6_llS6_dd.uses_flat_scratch, 0
	.set _ZN2at6native12_GLOBAL__N_122pdist_kernel_cuda_implIdNS1_5distsIdE1pEEEvPT_PKS6_llS6_dd.has_dyn_sized_stack, 0
	.set _ZN2at6native12_GLOBAL__N_122pdist_kernel_cuda_implIdNS1_5distsIdE1pEEEvPT_PKS6_llS6_dd.has_recursion, 0
	.set _ZN2at6native12_GLOBAL__N_122pdist_kernel_cuda_implIdNS1_5distsIdE1pEEEvPT_PKS6_llS6_dd.has_indirect_call, 0
	.section	.AMDGPU.csdata,"",@progbits
; Kernel info:
; codeLenInByte = 5064
; TotalNumSgprs: 90
; NumVgprs: 45
; ScratchSize: 0
; MemoryBound: 0
; FloatMode: 240
; IeeeMode: 1
; LDSByteSize: 2048 bytes/workgroup (compile time only)
; SGPRBlocks: 11
; VGPRBlocks: 11
; NumSGPRsForWavesPerEU: 90
; NumVGPRsForWavesPerEU: 45
; Occupancy: 5
; WaveLimiterHint : 0
; COMPUTE_PGM_RSRC2:SCRATCH_EN: 0
; COMPUTE_PGM_RSRC2:USER_SGPR: 6
; COMPUTE_PGM_RSRC2:TRAP_HANDLER: 0
; COMPUTE_PGM_RSRC2:TGID_X_EN: 1
; COMPUTE_PGM_RSRC2:TGID_Y_EN: 0
; COMPUTE_PGM_RSRC2:TGID_Z_EN: 0
; COMPUTE_PGM_RSRC2:TIDIG_COMP_CNT: 0
	.section	.text._ZN2at6native12_GLOBAL__N_122pdist_kernel_cuda_implIdNS1_5distsIdE4zeroEEEvPT_PKS6_llS6_dd,"axG",@progbits,_ZN2at6native12_GLOBAL__N_122pdist_kernel_cuda_implIdNS1_5distsIdE4zeroEEEvPT_PKS6_llS6_dd,comdat
	.globl	_ZN2at6native12_GLOBAL__N_122pdist_kernel_cuda_implIdNS1_5distsIdE4zeroEEEvPT_PKS6_llS6_dd ; -- Begin function _ZN2at6native12_GLOBAL__N_122pdist_kernel_cuda_implIdNS1_5distsIdE4zeroEEEvPT_PKS6_llS6_dd
	.p2align	8
	.type	_ZN2at6native12_GLOBAL__N_122pdist_kernel_cuda_implIdNS1_5distsIdE4zeroEEEvPT_PKS6_llS6_dd,@function
_ZN2at6native12_GLOBAL__N_122pdist_kernel_cuda_implIdNS1_5distsIdE4zeroEEEvPT_PKS6_llS6_dd: ; @_ZN2at6native12_GLOBAL__N_122pdist_kernel_cuda_implIdNS1_5distsIdE4zeroEEEvPT_PKS6_llS6_dd
; %bb.0:
	s_load_dwordx8 s[8:15], s[4:5], 0x0
	s_load_dword s16, s[4:5], 0x44
	v_mov_b32_e32 v1, 0
	v_mov_b32_e32 v9, 0
	;; [unrolled: 1-line block ×3, first 2 shown]
	s_waitcnt lgkmcnt(0)
	v_cmp_gt_i64_e32 vcc, s[14:15], v[0:1]
	s_mov_b32 s7, 0
	s_and_saveexec_b64 s[2:3], vcc
	s_cbranch_execz .LBB11_8
; %bb.1:
	s_lshl_b64 s[0:1], s[6:7], 1
	v_cvt_f64_u32_e32 v[1:2], s1
	v_cvt_f64_u32_e32 v[3:4], s0
	s_load_dwordx4 s[20:23], s[4:5], 0x28
	s_mov_b32 s0, 0
	v_ldexp_f64 v[1:2], v[1:2], 32
	s_brev_b32 s1, 8
	v_mov_b32_e32 v9, s11
	s_mov_b64 s[4:5], 0
	v_add_f64 v[1:2], v[1:2], v[3:4]
	s_waitcnt lgkmcnt(0)
	v_add_f64 v[1:2], s[22:23], -v[1:2]
	v_cmp_gt_f64_e32 vcc, s[0:1], v[1:2]
	s_and_b64 s[0:1], vcc, exec
	s_cselect_b32 s0, 0x100, 0
	v_ldexp_f64 v[1:2], v[1:2], s0
	s_cselect_b32 s0, 0xffffff80, 0
	v_rsq_f64_e32 v[3:4], v[1:2]
	v_mul_f64 v[5:6], v[1:2], v[3:4]
	v_mul_f64 v[3:4], v[3:4], 0.5
	v_fma_f64 v[7:8], -v[3:4], v[5:6], 0.5
	v_fma_f64 v[5:6], v[5:6], v[7:8], v[5:6]
	v_fma_f64 v[3:4], v[3:4], v[7:8], v[3:4]
	v_fma_f64 v[7:8], -v[5:6], v[5:6], v[1:2]
	v_fma_f64 v[5:6], v[7:8], v[3:4], v[5:6]
	v_fma_f64 v[7:8], -v[5:6], v[5:6], v[1:2]
	v_fma_f64 v[3:4], v[7:8], v[3:4], v[5:6]
	v_mov_b32_e32 v5, 0x260
	v_cmp_class_f64_e32 vcc, v[1:2], v5
	v_lshlrev_b32_e32 v8, 3, v0
	v_mov_b32_e32 v7, s11
	v_ldexp_f64 v[3:4], v[3:4], s0
	s_movk_i32 s0, 0xffe0
	v_cndmask_b32_e32 v2, v4, v2, vcc
	v_cndmask_b32_e32 v1, v3, v1, vcc
	v_add_f64 v[1:2], s[20:21], -v[1:2]
	v_add_co_u32_e32 v13, vcc, s10, v8
	v_addc_co_u32_e32 v14, vcc, 0, v9, vcc
	v_trunc_f64_e32 v[3:4], v[1:2]
	v_ldexp_f64 v[1:2], v[3:4], s0
	s_mov_b32 s0, 0
	s_mov_b32 s1, 0xc1f00000
	v_floor_f64_e32 v[5:6], v[1:2]
	v_mov_b32_e32 v1, 0
	v_mov_b32_e32 v2, 0
	v_fma_f64 v[3:4], v[5:6], s[0:1], v[3:4]
	v_cvt_i32_f64_e32 v5, v[5:6]
	s_lshl_b64 s[0:1], s[14:15], 3
	v_mov_b32_e32 v6, s1
	v_readfirstlane_b32 s1, v5
	s_mul_i32 s11, s12, s1
	v_cvt_u32_f64_e32 v3, v[3:4]
	v_mul_lo_u32 v4, s14, v5
	v_mul_hi_u32 v9, s14, v3
	v_readfirstlane_b32 s17, v3
	v_mul_lo_u32 v5, s15, v3
	v_mul_lo_u32 v3, s14, v3
	s_add_u32 s18, s17, 1
	s_addc_u32 s20, s1, 0
	s_mul_hi_u32 s19, s12, s17
	s_mul_hi_u32 s21, s18, s17
	s_mul_i32 s1, s18, s1
	s_mul_i32 s22, s18, s17
	s_add_u32 s18, s18, s6
	v_add_u32_e32 v4, v9, v4
	s_mul_i32 s13, s13, s17
	s_mul_i32 s12, s12, s17
	;; [unrolled: 1-line block ×3, first 2 shown]
	s_addc_u32 s20, s20, 0
	s_add_i32 s11, s19, s11
	v_add_u32_e32 v4, v4, v5
	s_add_i32 s11, s11, s13
	v_lshlrev_b64 v[3:4], 3, v[3:4]
	s_sub_u32 s12, s18, s12
	s_subb_u32 s11, s20, s11
	s_add_i32 s1, s21, s1
	v_add_co_u32_e32 v9, vcc, s10, v3
	v_addc_co_u32_e32 v10, vcc, v7, v4, vcc
	s_add_i32 s1, s1, s17
	v_add_co_u32_e32 v5, vcc, s0, v9
	s_lshr_b32 s0, s1, 31
	s_add_u32 s0, s22, s0
	s_addc_u32 s1, s1, 0
	s_ashr_i64 s[0:1], s[0:1], 1
	s_add_u32 s0, s12, s0
	s_addc_u32 s1, s11, s1
	s_mul_hi_u32 s10, s14, s0
	s_mul_i32 s1, s14, s1
	v_addc_co_u32_e32 v6, vcc, v10, v6, vcc
	s_mul_i32 s11, s15, s0
	s_add_i32 s1, s10, s1
	v_add_co_u32_e32 v7, vcc, v9, v8
	s_and_b32 s12, s16, 0xffff
	s_mul_i32 s0, s14, s0
	s_add_i32 s1, s1, s11
	v_addc_co_u32_e32 v8, vcc, 0, v10, vcc
	s_lshl_b32 s14, s12, 3
	s_lshl_b64 s[10:11], s[0:1], 3
	s_lshl_b32 s15, s12, 3
	s_branch .LBB11_4
.LBB11_2:                               ;   in Loop: Header=BB11_4 Depth=1
	s_or_b64 exec, exec, s[12:13]
	v_mov_b32_e32 v10, v2
	v_mov_b32_e32 v9, v1
.LBB11_3:                               ;   in Loop: Header=BB11_4 Depth=1
	s_or_b64 exec, exec, s[0:1]
	v_add_co_u32_e32 v7, vcc, s15, v7
	v_addc_co_u32_e32 v8, vcc, 0, v8, vcc
	v_cmp_ge_u64_e32 vcc, v[7:8], v[5:6]
	v_add_co_u32_e64 v13, s[0:1], s14, v13
	v_mov_b32_e32 v1, v9
	v_addc_co_u32_e64 v14, s[0:1], 0, v14, s[0:1]
	s_or_b64 s[4:5], vcc, s[4:5]
	v_mov_b32_e32 v2, v10
	s_andn2_b64 exec, exec, s[4:5]
	s_cbranch_execz .LBB11_7
.LBB11_4:                               ; =>This Inner Loop Header: Depth=1
	v_mov_b32_e32 v10, s11
	v_add_co_u32_e32 v9, vcc, s10, v13
	v_addc_co_u32_e32 v10, vcc, v14, v10, vcc
	v_add_co_u32_e32 v11, vcc, v13, v3
	v_addc_co_u32_e32 v12, vcc, v14, v4, vcc
	global_load_dwordx2 v[15:16], v[11:12], off
	global_load_dwordx2 v[17:18], v[9:10], off
	s_waitcnt vmcnt(0)
	v_add_f64 v[11:12], v[15:16], -v[17:18]
	v_cmp_o_f64_e32 vcc, v[11:12], v[11:12]
	v_and_b32_e32 v10, 0x7fffffff, v12
	v_mov_b32_e32 v9, v11
	s_and_saveexec_b64 s[0:1], vcc
	s_cbranch_execz .LBB11_3
; %bb.5:                                ;   in Loop: Header=BB11_4 Depth=1
	v_cmp_neq_f64_e32 vcc, 0, v[11:12]
	s_and_saveexec_b64 s[12:13], vcc
	s_cbranch_execz .LBB11_2
; %bb.6:                                ;   in Loop: Header=BB11_4 Depth=1
	v_add_f64 v[1:2], v[1:2], 1.0
	s_branch .LBB11_2
.LBB11_7:
	s_or_b64 exec, exec, s[4:5]
.LBB11_8:
	s_or_b64 exec, exec, s[2:3]
	v_mbcnt_lo_u32_b32 v1, -1, 0
	v_mbcnt_hi_u32_b32 v12, -1, v1
	v_mov_b32_e32 v1, 0x80
	v_lshl_or_b32 v5, v12, 2, v1
	ds_bpermute_b32 v1, v5, v9
	ds_bpermute_b32 v2, v5, v10
	v_and_b32_e32 v11, 63, v0
	s_waitcnt lgkmcnt(0)
	s_barrier
	v_add_f64 v[1:2], v[9:10], v[1:2]
	v_and_b32_e32 v10, 63, v12
	v_cmp_gt_u32_e32 vcc, 48, v10
	v_cndmask_b32_e64 v3, 0, 16, vcc
	v_add_lshl_u32 v6, v3, v12, 2
	v_cmp_gt_u32_e32 vcc, 56, v10
	ds_bpermute_b32 v3, v6, v1
	ds_bpermute_b32 v4, v6, v2
	s_waitcnt lgkmcnt(0)
	v_add_f64 v[1:2], v[1:2], v[3:4]
	v_cndmask_b32_e64 v3, 0, 8, vcc
	v_add_lshl_u32 v7, v3, v12, 2
	v_cmp_gt_u32_e32 vcc, 60, v10
	ds_bpermute_b32 v3, v7, v1
	ds_bpermute_b32 v4, v7, v2
	s_waitcnt lgkmcnt(0)
	v_add_f64 v[1:2], v[1:2], v[3:4]
	;; [unrolled: 7-line block ×3, first 2 shown]
	v_cndmask_b32_e64 v3, 0, 2, vcc
	v_add_lshl_u32 v9, v3, v12, 2
	v_cmp_ne_u32_e32 vcc, 63, v10
	ds_bpermute_b32 v3, v9, v1
	ds_bpermute_b32 v4, v9, v2
	s_waitcnt lgkmcnt(0)
	v_add_f64 v[1:2], v[1:2], v[3:4]
	v_addc_co_u32_e32 v3, vcc, 0, v12, vcc
	v_lshlrev_b32_e32 v10, 2, v3
	v_cmp_eq_u32_e32 vcc, 0, v11
	ds_bpermute_b32 v3, v10, v1
	ds_bpermute_b32 v4, v10, v2
	s_and_saveexec_b64 s[0:1], vcc
	s_cbranch_execz .LBB11_10
; %bb.9:
	s_waitcnt lgkmcnt(0)
	v_add_f64 v[1:2], v[1:2], v[3:4]
	v_lshrrev_b32_e32 v3, 3, v0
	ds_write_b64 v3, v[1:2]
.LBB11_10:
	s_or_b64 exec, exec, s[0:1]
	s_and_b32 s0, 0xffff, s16
	s_lshr_b32 s0, s0, 6
	v_mov_b32_e32 v1, 0
	v_mov_b32_e32 v2, 0
	v_cmp_gt_u32_e32 vcc, s0, v0
	s_waitcnt lgkmcnt(0)
	s_barrier
	s_and_saveexec_b64 s[0:1], vcc
	s_cbranch_execnz .LBB11_14
; %bb.11:
	s_or_b64 exec, exec, s[0:1]
	v_cmp_gt_u32_e32 vcc, 64, v0
	s_and_saveexec_b64 s[0:1], vcc
	s_cbranch_execnz .LBB11_15
.LBB11_12:
	s_or_b64 exec, exec, s[0:1]
	v_cmp_eq_u32_e32 vcc, 0, v0
	s_and_saveexec_b64 s[0:1], vcc
	s_cbranch_execnz .LBB11_16
.LBB11_13:
	s_endpgm
.LBB11_14:
	v_lshlrev_b32_e32 v1, 3, v11
	ds_read_b64 v[1:2], v1
	s_or_b64 exec, exec, s[0:1]
	v_cmp_gt_u32_e32 vcc, 64, v0
	s_and_saveexec_b64 s[0:1], vcc
	s_cbranch_execz .LBB11_12
.LBB11_15:
	s_waitcnt lgkmcnt(0)
	ds_bpermute_b32 v3, v5, v1
	ds_bpermute_b32 v4, v5, v2
	s_waitcnt lgkmcnt(0)
	v_add_f64 v[1:2], v[1:2], v[3:4]
	ds_bpermute_b32 v3, v6, v1
	ds_bpermute_b32 v4, v6, v2
	s_waitcnt lgkmcnt(0)
	v_add_f64 v[1:2], v[1:2], v[3:4]
	;; [unrolled: 4-line block ×6, first 2 shown]
	s_or_b64 exec, exec, s[0:1]
	v_cmp_eq_u32_e32 vcc, 0, v0
	s_and_saveexec_b64 s[0:1], vcc
	s_cbranch_execz .LBB11_13
.LBB11_16:
	s_lshl_b64 s[0:1], s[6:7], 3
	s_add_u32 s0, s8, s0
	s_addc_u32 s1, s9, s1
	v_mov_b32_e32 v0, 0
	s_waitcnt lgkmcnt(0)
	global_store_dwordx2 v0, v[1:2], s[0:1]
	s_endpgm
	.section	.rodata,"a",@progbits
	.p2align	6, 0x0
	.amdhsa_kernel _ZN2at6native12_GLOBAL__N_122pdist_kernel_cuda_implIdNS1_5distsIdE4zeroEEEvPT_PKS6_llS6_dd
		.amdhsa_group_segment_fixed_size 2048
		.amdhsa_private_segment_fixed_size 0
		.amdhsa_kernarg_size 312
		.amdhsa_user_sgpr_count 6
		.amdhsa_user_sgpr_private_segment_buffer 1
		.amdhsa_user_sgpr_dispatch_ptr 0
		.amdhsa_user_sgpr_queue_ptr 0
		.amdhsa_user_sgpr_kernarg_segment_ptr 1
		.amdhsa_user_sgpr_dispatch_id 0
		.amdhsa_user_sgpr_flat_scratch_init 0
		.amdhsa_user_sgpr_private_segment_size 0
		.amdhsa_uses_dynamic_stack 0
		.amdhsa_system_sgpr_private_segment_wavefront_offset 0
		.amdhsa_system_sgpr_workgroup_id_x 1
		.amdhsa_system_sgpr_workgroup_id_y 0
		.amdhsa_system_sgpr_workgroup_id_z 0
		.amdhsa_system_sgpr_workgroup_info 0
		.amdhsa_system_vgpr_workitem_id 0
		.amdhsa_next_free_vgpr 29
		.amdhsa_next_free_sgpr 61
		.amdhsa_reserve_vcc 1
		.amdhsa_reserve_flat_scratch 0
		.amdhsa_float_round_mode_32 0
		.amdhsa_float_round_mode_16_64 0
		.amdhsa_float_denorm_mode_32 3
		.amdhsa_float_denorm_mode_16_64 3
		.amdhsa_dx10_clamp 1
		.amdhsa_ieee_mode 1
		.amdhsa_fp16_overflow 0
		.amdhsa_exception_fp_ieee_invalid_op 0
		.amdhsa_exception_fp_denorm_src 0
		.amdhsa_exception_fp_ieee_div_zero 0
		.amdhsa_exception_fp_ieee_overflow 0
		.amdhsa_exception_fp_ieee_underflow 0
		.amdhsa_exception_fp_ieee_inexact 0
		.amdhsa_exception_int_div_zero 0
	.end_amdhsa_kernel
	.section	.text._ZN2at6native12_GLOBAL__N_122pdist_kernel_cuda_implIdNS1_5distsIdE4zeroEEEvPT_PKS6_llS6_dd,"axG",@progbits,_ZN2at6native12_GLOBAL__N_122pdist_kernel_cuda_implIdNS1_5distsIdE4zeroEEEvPT_PKS6_llS6_dd,comdat
.Lfunc_end11:
	.size	_ZN2at6native12_GLOBAL__N_122pdist_kernel_cuda_implIdNS1_5distsIdE4zeroEEEvPT_PKS6_llS6_dd, .Lfunc_end11-_ZN2at6native12_GLOBAL__N_122pdist_kernel_cuda_implIdNS1_5distsIdE4zeroEEEvPT_PKS6_llS6_dd
                                        ; -- End function
	.set _ZN2at6native12_GLOBAL__N_122pdist_kernel_cuda_implIdNS1_5distsIdE4zeroEEEvPT_PKS6_llS6_dd.num_vgpr, 19
	.set _ZN2at6native12_GLOBAL__N_122pdist_kernel_cuda_implIdNS1_5distsIdE4zeroEEEvPT_PKS6_llS6_dd.num_agpr, 0
	.set _ZN2at6native12_GLOBAL__N_122pdist_kernel_cuda_implIdNS1_5distsIdE4zeroEEEvPT_PKS6_llS6_dd.numbered_sgpr, 24
	.set _ZN2at6native12_GLOBAL__N_122pdist_kernel_cuda_implIdNS1_5distsIdE4zeroEEEvPT_PKS6_llS6_dd.num_named_barrier, 0
	.set _ZN2at6native12_GLOBAL__N_122pdist_kernel_cuda_implIdNS1_5distsIdE4zeroEEEvPT_PKS6_llS6_dd.private_seg_size, 0
	.set _ZN2at6native12_GLOBAL__N_122pdist_kernel_cuda_implIdNS1_5distsIdE4zeroEEEvPT_PKS6_llS6_dd.uses_vcc, 1
	.set _ZN2at6native12_GLOBAL__N_122pdist_kernel_cuda_implIdNS1_5distsIdE4zeroEEEvPT_PKS6_llS6_dd.uses_flat_scratch, 0
	.set _ZN2at6native12_GLOBAL__N_122pdist_kernel_cuda_implIdNS1_5distsIdE4zeroEEEvPT_PKS6_llS6_dd.has_dyn_sized_stack, 0
	.set _ZN2at6native12_GLOBAL__N_122pdist_kernel_cuda_implIdNS1_5distsIdE4zeroEEEvPT_PKS6_llS6_dd.has_recursion, 0
	.set _ZN2at6native12_GLOBAL__N_122pdist_kernel_cuda_implIdNS1_5distsIdE4zeroEEEvPT_PKS6_llS6_dd.has_indirect_call, 0
	.section	.AMDGPU.csdata,"",@progbits
; Kernel info:
; codeLenInByte = 1384
; TotalNumSgprs: 28
; NumVgprs: 19
; ScratchSize: 0
; MemoryBound: 0
; FloatMode: 240
; IeeeMode: 1
; LDSByteSize: 2048 bytes/workgroup (compile time only)
; SGPRBlocks: 8
; VGPRBlocks: 7
; NumSGPRsForWavesPerEU: 65
; NumVGPRsForWavesPerEU: 29
; Occupancy: 8
; WaveLimiterHint : 0
; COMPUTE_PGM_RSRC2:SCRATCH_EN: 0
; COMPUTE_PGM_RSRC2:USER_SGPR: 6
; COMPUTE_PGM_RSRC2:TRAP_HANDLER: 0
; COMPUTE_PGM_RSRC2:TGID_X_EN: 1
; COMPUTE_PGM_RSRC2:TGID_Y_EN: 0
; COMPUTE_PGM_RSRC2:TGID_Z_EN: 0
; COMPUTE_PGM_RSRC2:TIDIG_COMP_CNT: 0
	.section	.text._ZN2at6native12_GLOBAL__N_122pdist_kernel_cuda_implIdNS1_5distsIdE3oneEEEvPT_PKS6_llS6_dd,"axG",@progbits,_ZN2at6native12_GLOBAL__N_122pdist_kernel_cuda_implIdNS1_5distsIdE3oneEEEvPT_PKS6_llS6_dd,comdat
	.globl	_ZN2at6native12_GLOBAL__N_122pdist_kernel_cuda_implIdNS1_5distsIdE3oneEEEvPT_PKS6_llS6_dd ; -- Begin function _ZN2at6native12_GLOBAL__N_122pdist_kernel_cuda_implIdNS1_5distsIdE3oneEEEvPT_PKS6_llS6_dd
	.p2align	8
	.type	_ZN2at6native12_GLOBAL__N_122pdist_kernel_cuda_implIdNS1_5distsIdE3oneEEEvPT_PKS6_llS6_dd,@function
_ZN2at6native12_GLOBAL__N_122pdist_kernel_cuda_implIdNS1_5distsIdE3oneEEEvPT_PKS6_llS6_dd: ; @_ZN2at6native12_GLOBAL__N_122pdist_kernel_cuda_implIdNS1_5distsIdE3oneEEEvPT_PKS6_llS6_dd
; %bb.0:
	s_load_dwordx8 s[8:15], s[4:5], 0x0
	s_load_dword s16, s[4:5], 0x44
	v_mov_b32_e32 v1, 0
	s_mov_b32 s7, 0
	s_waitcnt lgkmcnt(0)
	v_cmp_gt_i64_e32 vcc, s[14:15], v[0:1]
	v_mov_b32_e32 v1, 0
	v_mov_b32_e32 v2, 0
	s_and_saveexec_b64 s[2:3], vcc
	s_cbranch_execz .LBB12_4
; %bb.1:
	s_lshl_b64 s[0:1], s[6:7], 1
	v_cvt_f64_u32_e32 v[1:2], s1
	v_cvt_f64_u32_e32 v[3:4], s0
	s_load_dwordx4 s[20:23], s[4:5], 0x28
	s_mov_b32 s0, 0
	v_ldexp_f64 v[1:2], v[1:2], 32
	s_brev_b32 s1, 8
	v_mov_b32_e32 v10, s11
	s_mov_b64 s[4:5], 0
	v_add_f64 v[1:2], v[1:2], v[3:4]
	s_waitcnt lgkmcnt(0)
	v_add_f64 v[1:2], s[22:23], -v[1:2]
	v_cmp_gt_f64_e32 vcc, s[0:1], v[1:2]
	s_and_b64 s[0:1], vcc, exec
	s_cselect_b32 s0, 0x100, 0
	v_ldexp_f64 v[1:2], v[1:2], s0
	s_cselect_b32 s0, 0xffffff80, 0
	v_rsq_f64_e32 v[3:4], v[1:2]
	v_mul_f64 v[5:6], v[1:2], v[3:4]
	v_mul_f64 v[3:4], v[3:4], 0.5
	v_fma_f64 v[7:8], -v[3:4], v[5:6], 0.5
	v_fma_f64 v[5:6], v[5:6], v[7:8], v[5:6]
	v_fma_f64 v[3:4], v[3:4], v[7:8], v[3:4]
	v_fma_f64 v[7:8], -v[5:6], v[5:6], v[1:2]
	v_fma_f64 v[5:6], v[7:8], v[3:4], v[5:6]
	v_fma_f64 v[7:8], -v[5:6], v[5:6], v[1:2]
	v_fma_f64 v[3:4], v[7:8], v[3:4], v[5:6]
	v_mov_b32_e32 v5, 0x260
	v_cmp_class_f64_e32 vcc, v[1:2], v5
	v_mov_b32_e32 v7, s11
	v_lshlrev_b32_e32 v8, 3, v0
	v_ldexp_f64 v[3:4], v[3:4], s0
	s_movk_i32 s0, 0xffe0
	v_cndmask_b32_e32 v2, v4, v2, vcc
	v_cndmask_b32_e32 v1, v3, v1, vcc
	v_add_f64 v[1:2], s[20:21], -v[1:2]
	v_add_co_u32_e32 v9, vcc, s10, v8
	v_addc_co_u32_e32 v10, vcc, 0, v10, vcc
	v_trunc_f64_e32 v[3:4], v[1:2]
	v_ldexp_f64 v[1:2], v[3:4], s0
	s_mov_b32 s0, 0
	s_mov_b32 s1, 0xc1f00000
	v_floor_f64_e32 v[5:6], v[1:2]
	v_mov_b32_e32 v1, 0
	v_mov_b32_e32 v2, 0
	v_fma_f64 v[3:4], v[5:6], s[0:1], v[3:4]
	v_cvt_i32_f64_e32 v5, v[5:6]
	s_lshl_b64 s[0:1], s[14:15], 3
	v_mov_b32_e32 v6, s1
	v_readfirstlane_b32 s1, v5
	s_mul_i32 s11, s12, s1
	v_cvt_u32_f64_e32 v3, v[3:4]
	v_mul_lo_u32 v4, s14, v5
	v_mul_hi_u32 v11, s14, v3
	v_readfirstlane_b32 s17, v3
	v_mul_lo_u32 v5, s15, v3
	v_mul_lo_u32 v3, s14, v3
	s_add_u32 s18, s17, 1
	s_addc_u32 s20, s1, 0
	s_mul_hi_u32 s19, s12, s17
	s_mul_hi_u32 s21, s18, s17
	s_mul_i32 s1, s18, s1
	s_mul_i32 s22, s18, s17
	s_add_u32 s18, s18, s6
	v_add_u32_e32 v4, v11, v4
	s_mul_i32 s13, s13, s17
	s_mul_i32 s12, s12, s17
	;; [unrolled: 1-line block ×3, first 2 shown]
	s_addc_u32 s20, s20, 0
	s_add_i32 s11, s19, s11
	v_add_u32_e32 v4, v4, v5
	s_add_i32 s11, s11, s13
	v_lshlrev_b64 v[3:4], 3, v[3:4]
	s_sub_u32 s12, s18, s12
	s_subb_u32 s11, s20, s11
	s_add_i32 s1, s21, s1
	v_add_co_u32_e32 v11, vcc, s10, v3
	v_addc_co_u32_e32 v12, vcc, v7, v4, vcc
	s_add_i32 s1, s1, s17
	v_add_co_u32_e32 v5, vcc, s0, v11
	s_lshr_b32 s0, s1, 31
	s_add_u32 s0, s22, s0
	s_addc_u32 s1, s1, 0
	s_ashr_i64 s[0:1], s[0:1], 1
	s_add_u32 s0, s12, s0
	s_addc_u32 s1, s11, s1
	s_mul_hi_u32 s10, s14, s0
	s_mul_i32 s1, s14, s1
	v_addc_co_u32_e32 v6, vcc, v12, v6, vcc
	s_mul_i32 s11, s15, s0
	s_add_i32 s1, s10, s1
	v_add_co_u32_e32 v7, vcc, v11, v8
	s_and_b32 s13, s16, 0xffff
	s_mul_i32 s0, s14, s0
	s_add_i32 s1, s1, s11
	v_addc_co_u32_e32 v8, vcc, 0, v12, vcc
	s_lshl_b32 s12, s13, 3
	s_lshl_b64 s[10:11], s[0:1], 3
	s_lshl_b32 s13, s13, 3
.LBB12_2:                               ; =>This Inner Loop Header: Depth=1
	v_add_co_u32_e32 v11, vcc, v9, v3
	v_addc_co_u32_e32 v12, vcc, v10, v4, vcc
	v_mov_b32_e32 v14, s11
	v_add_co_u32_e32 v13, vcc, s10, v9
	v_addc_co_u32_e32 v14, vcc, v10, v14, vcc
	global_load_dwordx2 v[15:16], v[11:12], off
	global_load_dwordx2 v[17:18], v[13:14], off
	v_add_co_u32_e32 v7, vcc, s13, v7
	v_addc_co_u32_e32 v8, vcc, 0, v8, vcc
	v_cmp_ge_u64_e64 s[0:1], v[7:8], v[5:6]
	v_add_co_u32_e32 v9, vcc, s12, v9
	s_or_b64 s[4:5], s[0:1], s[4:5]
	v_addc_co_u32_e32 v10, vcc, 0, v10, vcc
	s_waitcnt vmcnt(0)
	v_add_f64 v[11:12], v[15:16], -v[17:18]
	v_add_f64 v[1:2], v[1:2], |v[11:12]|
	s_andn2_b64 exec, exec, s[4:5]
	s_cbranch_execnz .LBB12_2
; %bb.3:
	s_or_b64 exec, exec, s[4:5]
.LBB12_4:
	s_or_b64 exec, exec, s[2:3]
	v_mbcnt_lo_u32_b32 v3, -1, 0
	v_mbcnt_hi_u32_b32 v10, -1, v3
	v_mov_b32_e32 v3, 0x80
	v_lshl_or_b32 v5, v10, 2, v3
	ds_bpermute_b32 v3, v5, v1
	ds_bpermute_b32 v4, v5, v2
	v_and_b32_e32 v12, 63, v10
	v_cmp_gt_u32_e32 vcc, 48, v12
	v_and_b32_e32 v11, 63, v0
	s_waitcnt lgkmcnt(0)
	v_add_f64 v[1:2], v[1:2], v[3:4]
	v_cndmask_b32_e64 v3, 0, 16, vcc
	v_add_lshl_u32 v6, v3, v10, 2
	v_cmp_gt_u32_e32 vcc, 56, v12
	s_barrier
	ds_bpermute_b32 v3, v6, v1
	ds_bpermute_b32 v4, v6, v2
	s_waitcnt lgkmcnt(0)
	v_add_f64 v[1:2], v[1:2], v[3:4]
	v_cndmask_b32_e64 v3, 0, 8, vcc
	v_add_lshl_u32 v7, v3, v10, 2
	v_cmp_gt_u32_e32 vcc, 60, v12
	ds_bpermute_b32 v3, v7, v1
	ds_bpermute_b32 v4, v7, v2
	s_waitcnt lgkmcnt(0)
	v_add_f64 v[1:2], v[1:2], v[3:4]
	v_cndmask_b32_e64 v3, 0, 4, vcc
	v_add_lshl_u32 v8, v3, v10, 2
	v_cmp_gt_u32_e32 vcc, 62, v12
	ds_bpermute_b32 v3, v8, v1
	ds_bpermute_b32 v4, v8, v2
	s_waitcnt lgkmcnt(0)
	v_add_f64 v[1:2], v[1:2], v[3:4]
	v_cndmask_b32_e64 v3, 0, 2, vcc
	v_add_lshl_u32 v9, v3, v10, 2
	v_cmp_ne_u32_e32 vcc, 63, v12
	ds_bpermute_b32 v3, v9, v1
	ds_bpermute_b32 v4, v9, v2
	s_waitcnt lgkmcnt(0)
	v_add_f64 v[1:2], v[1:2], v[3:4]
	v_addc_co_u32_e32 v3, vcc, 0, v10, vcc
	v_lshlrev_b32_e32 v10, 2, v3
	v_cmp_eq_u32_e32 vcc, 0, v11
	ds_bpermute_b32 v3, v10, v1
	ds_bpermute_b32 v4, v10, v2
	s_and_saveexec_b64 s[0:1], vcc
	s_cbranch_execz .LBB12_6
; %bb.5:
	s_waitcnt lgkmcnt(0)
	v_add_f64 v[1:2], v[1:2], v[3:4]
	v_lshrrev_b32_e32 v3, 3, v0
	ds_write_b64 v3, v[1:2]
.LBB12_6:
	s_or_b64 exec, exec, s[0:1]
	s_and_b32 s0, 0xffff, s16
	s_lshr_b32 s0, s0, 6
	v_mov_b32_e32 v1, 0
	v_mov_b32_e32 v2, 0
	v_cmp_gt_u32_e32 vcc, s0, v0
	s_waitcnt lgkmcnt(0)
	s_barrier
	s_and_saveexec_b64 s[0:1], vcc
	s_cbranch_execnz .LBB12_10
; %bb.7:
	s_or_b64 exec, exec, s[0:1]
	v_cmp_gt_u32_e32 vcc, 64, v0
	s_and_saveexec_b64 s[0:1], vcc
	s_cbranch_execnz .LBB12_11
.LBB12_8:
	s_or_b64 exec, exec, s[0:1]
	v_cmp_eq_u32_e32 vcc, 0, v0
	s_and_saveexec_b64 s[0:1], vcc
	s_cbranch_execnz .LBB12_12
.LBB12_9:
	s_endpgm
.LBB12_10:
	v_lshlrev_b32_e32 v1, 3, v11
	ds_read_b64 v[1:2], v1
	s_or_b64 exec, exec, s[0:1]
	v_cmp_gt_u32_e32 vcc, 64, v0
	s_and_saveexec_b64 s[0:1], vcc
	s_cbranch_execz .LBB12_8
.LBB12_11:
	s_waitcnt lgkmcnt(0)
	ds_bpermute_b32 v3, v5, v1
	ds_bpermute_b32 v4, v5, v2
	s_waitcnt lgkmcnt(0)
	v_add_f64 v[1:2], v[1:2], v[3:4]
	ds_bpermute_b32 v3, v6, v1
	ds_bpermute_b32 v4, v6, v2
	s_waitcnt lgkmcnt(0)
	v_add_f64 v[1:2], v[1:2], v[3:4]
	;; [unrolled: 4-line block ×6, first 2 shown]
	s_or_b64 exec, exec, s[0:1]
	v_cmp_eq_u32_e32 vcc, 0, v0
	s_and_saveexec_b64 s[0:1], vcc
	s_cbranch_execz .LBB12_9
.LBB12_12:
	s_lshl_b64 s[0:1], s[6:7], 3
	s_add_u32 s0, s8, s0
	s_addc_u32 s1, s9, s1
	v_mov_b32_e32 v0, 0
	s_waitcnt lgkmcnt(0)
	global_store_dwordx2 v0, v[1:2], s[0:1]
	s_endpgm
	.section	.rodata,"a",@progbits
	.p2align	6, 0x0
	.amdhsa_kernel _ZN2at6native12_GLOBAL__N_122pdist_kernel_cuda_implIdNS1_5distsIdE3oneEEEvPT_PKS6_llS6_dd
		.amdhsa_group_segment_fixed_size 2048
		.amdhsa_private_segment_fixed_size 0
		.amdhsa_kernarg_size 312
		.amdhsa_user_sgpr_count 6
		.amdhsa_user_sgpr_private_segment_buffer 1
		.amdhsa_user_sgpr_dispatch_ptr 0
		.amdhsa_user_sgpr_queue_ptr 0
		.amdhsa_user_sgpr_kernarg_segment_ptr 1
		.amdhsa_user_sgpr_dispatch_id 0
		.amdhsa_user_sgpr_flat_scratch_init 0
		.amdhsa_user_sgpr_private_segment_size 0
		.amdhsa_uses_dynamic_stack 0
		.amdhsa_system_sgpr_private_segment_wavefront_offset 0
		.amdhsa_system_sgpr_workgroup_id_x 1
		.amdhsa_system_sgpr_workgroup_id_y 0
		.amdhsa_system_sgpr_workgroup_id_z 0
		.amdhsa_system_sgpr_workgroup_info 0
		.amdhsa_system_vgpr_workitem_id 0
		.amdhsa_next_free_vgpr 29
		.amdhsa_next_free_sgpr 61
		.amdhsa_reserve_vcc 1
		.amdhsa_reserve_flat_scratch 0
		.amdhsa_float_round_mode_32 0
		.amdhsa_float_round_mode_16_64 0
		.amdhsa_float_denorm_mode_32 3
		.amdhsa_float_denorm_mode_16_64 3
		.amdhsa_dx10_clamp 1
		.amdhsa_ieee_mode 1
		.amdhsa_fp16_overflow 0
		.amdhsa_exception_fp_ieee_invalid_op 0
		.amdhsa_exception_fp_denorm_src 0
		.amdhsa_exception_fp_ieee_div_zero 0
		.amdhsa_exception_fp_ieee_overflow 0
		.amdhsa_exception_fp_ieee_underflow 0
		.amdhsa_exception_fp_ieee_inexact 0
		.amdhsa_exception_int_div_zero 0
	.end_amdhsa_kernel
	.section	.text._ZN2at6native12_GLOBAL__N_122pdist_kernel_cuda_implIdNS1_5distsIdE3oneEEEvPT_PKS6_llS6_dd,"axG",@progbits,_ZN2at6native12_GLOBAL__N_122pdist_kernel_cuda_implIdNS1_5distsIdE3oneEEEvPT_PKS6_llS6_dd,comdat
.Lfunc_end12:
	.size	_ZN2at6native12_GLOBAL__N_122pdist_kernel_cuda_implIdNS1_5distsIdE3oneEEEvPT_PKS6_llS6_dd, .Lfunc_end12-_ZN2at6native12_GLOBAL__N_122pdist_kernel_cuda_implIdNS1_5distsIdE3oneEEEvPT_PKS6_llS6_dd
                                        ; -- End function
	.set _ZN2at6native12_GLOBAL__N_122pdist_kernel_cuda_implIdNS1_5distsIdE3oneEEEvPT_PKS6_llS6_dd.num_vgpr, 19
	.set _ZN2at6native12_GLOBAL__N_122pdist_kernel_cuda_implIdNS1_5distsIdE3oneEEEvPT_PKS6_llS6_dd.num_agpr, 0
	.set _ZN2at6native12_GLOBAL__N_122pdist_kernel_cuda_implIdNS1_5distsIdE3oneEEEvPT_PKS6_llS6_dd.numbered_sgpr, 24
	.set _ZN2at6native12_GLOBAL__N_122pdist_kernel_cuda_implIdNS1_5distsIdE3oneEEEvPT_PKS6_llS6_dd.num_named_barrier, 0
	.set _ZN2at6native12_GLOBAL__N_122pdist_kernel_cuda_implIdNS1_5distsIdE3oneEEEvPT_PKS6_llS6_dd.private_seg_size, 0
	.set _ZN2at6native12_GLOBAL__N_122pdist_kernel_cuda_implIdNS1_5distsIdE3oneEEEvPT_PKS6_llS6_dd.uses_vcc, 1
	.set _ZN2at6native12_GLOBAL__N_122pdist_kernel_cuda_implIdNS1_5distsIdE3oneEEEvPT_PKS6_llS6_dd.uses_flat_scratch, 0
	.set _ZN2at6native12_GLOBAL__N_122pdist_kernel_cuda_implIdNS1_5distsIdE3oneEEEvPT_PKS6_llS6_dd.has_dyn_sized_stack, 0
	.set _ZN2at6native12_GLOBAL__N_122pdist_kernel_cuda_implIdNS1_5distsIdE3oneEEEvPT_PKS6_llS6_dd.has_recursion, 0
	.set _ZN2at6native12_GLOBAL__N_122pdist_kernel_cuda_implIdNS1_5distsIdE3oneEEEvPT_PKS6_llS6_dd.has_indirect_call, 0
	.section	.AMDGPU.csdata,"",@progbits
; Kernel info:
; codeLenInByte = 1312
; TotalNumSgprs: 28
; NumVgprs: 19
; ScratchSize: 0
; MemoryBound: 0
; FloatMode: 240
; IeeeMode: 1
; LDSByteSize: 2048 bytes/workgroup (compile time only)
; SGPRBlocks: 8
; VGPRBlocks: 7
; NumSGPRsForWavesPerEU: 65
; NumVGPRsForWavesPerEU: 29
; Occupancy: 8
; WaveLimiterHint : 0
; COMPUTE_PGM_RSRC2:SCRATCH_EN: 0
; COMPUTE_PGM_RSRC2:USER_SGPR: 6
; COMPUTE_PGM_RSRC2:TRAP_HANDLER: 0
; COMPUTE_PGM_RSRC2:TGID_X_EN: 1
; COMPUTE_PGM_RSRC2:TGID_Y_EN: 0
; COMPUTE_PGM_RSRC2:TGID_Z_EN: 0
; COMPUTE_PGM_RSRC2:TIDIG_COMP_CNT: 0
	.section	.text._ZN2at6native12_GLOBAL__N_122pdist_kernel_cuda_implIdNS1_5distsIdE3twoEEEvPT_PKS6_llS6_dd,"axG",@progbits,_ZN2at6native12_GLOBAL__N_122pdist_kernel_cuda_implIdNS1_5distsIdE3twoEEEvPT_PKS6_llS6_dd,comdat
	.globl	_ZN2at6native12_GLOBAL__N_122pdist_kernel_cuda_implIdNS1_5distsIdE3twoEEEvPT_PKS6_llS6_dd ; -- Begin function _ZN2at6native12_GLOBAL__N_122pdist_kernel_cuda_implIdNS1_5distsIdE3twoEEEvPT_PKS6_llS6_dd
	.p2align	8
	.type	_ZN2at6native12_GLOBAL__N_122pdist_kernel_cuda_implIdNS1_5distsIdE3twoEEEvPT_PKS6_llS6_dd,@function
_ZN2at6native12_GLOBAL__N_122pdist_kernel_cuda_implIdNS1_5distsIdE3twoEEEvPT_PKS6_llS6_dd: ; @_ZN2at6native12_GLOBAL__N_122pdist_kernel_cuda_implIdNS1_5distsIdE3twoEEEvPT_PKS6_llS6_dd
; %bb.0:
	s_load_dwordx8 s[8:15], s[4:5], 0x0
	s_load_dword s16, s[4:5], 0x44
	v_mov_b32_e32 v1, 0
	s_mov_b32 s7, 0
	s_waitcnt lgkmcnt(0)
	v_cmp_gt_i64_e32 vcc, s[14:15], v[0:1]
	v_mov_b32_e32 v1, 0
	v_mov_b32_e32 v2, 0
	s_and_saveexec_b64 s[2:3], vcc
	s_cbranch_execz .LBB13_4
; %bb.1:
	s_lshl_b64 s[0:1], s[6:7], 1
	v_cvt_f64_u32_e32 v[1:2], s1
	v_cvt_f64_u32_e32 v[3:4], s0
	s_load_dwordx4 s[20:23], s[4:5], 0x28
	s_mov_b32 s0, 0
	v_ldexp_f64 v[1:2], v[1:2], 32
	s_brev_b32 s1, 8
	v_mov_b32_e32 v10, s11
	s_mov_b64 s[4:5], 0
	v_add_f64 v[1:2], v[1:2], v[3:4]
	s_waitcnt lgkmcnt(0)
	v_add_f64 v[1:2], s[22:23], -v[1:2]
	v_cmp_gt_f64_e32 vcc, s[0:1], v[1:2]
	s_and_b64 s[0:1], vcc, exec
	s_cselect_b32 s0, 0x100, 0
	v_ldexp_f64 v[1:2], v[1:2], s0
	s_cselect_b32 s0, 0xffffff80, 0
	v_rsq_f64_e32 v[3:4], v[1:2]
	v_mul_f64 v[5:6], v[1:2], v[3:4]
	v_mul_f64 v[3:4], v[3:4], 0.5
	v_fma_f64 v[7:8], -v[3:4], v[5:6], 0.5
	v_fma_f64 v[5:6], v[5:6], v[7:8], v[5:6]
	v_fma_f64 v[3:4], v[3:4], v[7:8], v[3:4]
	v_fma_f64 v[7:8], -v[5:6], v[5:6], v[1:2]
	v_fma_f64 v[5:6], v[7:8], v[3:4], v[5:6]
	v_fma_f64 v[7:8], -v[5:6], v[5:6], v[1:2]
	v_fma_f64 v[3:4], v[7:8], v[3:4], v[5:6]
	v_mov_b32_e32 v5, 0x260
	v_cmp_class_f64_e32 vcc, v[1:2], v5
	v_mov_b32_e32 v7, s11
	v_lshlrev_b32_e32 v8, 3, v0
	v_ldexp_f64 v[3:4], v[3:4], s0
	s_movk_i32 s0, 0xffe0
	v_cndmask_b32_e32 v2, v4, v2, vcc
	v_cndmask_b32_e32 v1, v3, v1, vcc
	v_add_f64 v[1:2], s[20:21], -v[1:2]
	v_add_co_u32_e32 v9, vcc, s10, v8
	v_addc_co_u32_e32 v10, vcc, 0, v10, vcc
	v_trunc_f64_e32 v[3:4], v[1:2]
	v_ldexp_f64 v[1:2], v[3:4], s0
	s_mov_b32 s0, 0
	s_mov_b32 s1, 0xc1f00000
	v_floor_f64_e32 v[5:6], v[1:2]
	v_mov_b32_e32 v1, 0
	v_mov_b32_e32 v2, 0
	v_fma_f64 v[3:4], v[5:6], s[0:1], v[3:4]
	v_cvt_i32_f64_e32 v5, v[5:6]
	s_lshl_b64 s[0:1], s[14:15], 3
	v_mov_b32_e32 v6, s1
	v_readfirstlane_b32 s1, v5
	s_mul_i32 s11, s12, s1
	v_cvt_u32_f64_e32 v3, v[3:4]
	v_mul_lo_u32 v4, s14, v5
	v_mul_hi_u32 v11, s14, v3
	v_readfirstlane_b32 s17, v3
	v_mul_lo_u32 v5, s15, v3
	v_mul_lo_u32 v3, s14, v3
	s_add_u32 s18, s17, 1
	s_addc_u32 s20, s1, 0
	s_mul_hi_u32 s19, s12, s17
	s_mul_hi_u32 s21, s18, s17
	s_mul_i32 s1, s18, s1
	s_mul_i32 s22, s18, s17
	s_add_u32 s18, s18, s6
	v_add_u32_e32 v4, v11, v4
	s_mul_i32 s13, s13, s17
	s_mul_i32 s12, s12, s17
	;; [unrolled: 1-line block ×3, first 2 shown]
	s_addc_u32 s20, s20, 0
	s_add_i32 s11, s19, s11
	v_add_u32_e32 v4, v4, v5
	s_add_i32 s11, s11, s13
	v_lshlrev_b64 v[3:4], 3, v[3:4]
	s_sub_u32 s12, s18, s12
	s_subb_u32 s11, s20, s11
	s_add_i32 s1, s21, s1
	v_add_co_u32_e32 v11, vcc, s10, v3
	v_addc_co_u32_e32 v12, vcc, v7, v4, vcc
	s_add_i32 s1, s1, s17
	v_add_co_u32_e32 v5, vcc, s0, v11
	s_lshr_b32 s0, s1, 31
	s_add_u32 s0, s22, s0
	s_addc_u32 s1, s1, 0
	s_ashr_i64 s[0:1], s[0:1], 1
	s_add_u32 s0, s12, s0
	s_addc_u32 s1, s11, s1
	s_mul_hi_u32 s10, s14, s0
	s_mul_i32 s1, s14, s1
	v_addc_co_u32_e32 v6, vcc, v12, v6, vcc
	s_mul_i32 s11, s15, s0
	s_add_i32 s1, s10, s1
	v_add_co_u32_e32 v7, vcc, v11, v8
	s_and_b32 s13, s16, 0xffff
	s_mul_i32 s0, s14, s0
	s_add_i32 s1, s1, s11
	v_addc_co_u32_e32 v8, vcc, 0, v12, vcc
	s_lshl_b32 s12, s13, 3
	s_lshl_b64 s[10:11], s[0:1], 3
	s_lshl_b32 s13, s13, 3
.LBB13_2:                               ; =>This Inner Loop Header: Depth=1
	v_add_co_u32_e32 v11, vcc, v9, v3
	v_addc_co_u32_e32 v12, vcc, v10, v4, vcc
	v_mov_b32_e32 v14, s11
	v_add_co_u32_e32 v13, vcc, s10, v9
	v_addc_co_u32_e32 v14, vcc, v10, v14, vcc
	global_load_dwordx2 v[15:16], v[11:12], off
	global_load_dwordx2 v[17:18], v[13:14], off
	v_add_co_u32_e32 v7, vcc, s13, v7
	v_addc_co_u32_e32 v8, vcc, 0, v8, vcc
	v_cmp_ge_u64_e64 s[0:1], v[7:8], v[5:6]
	v_add_co_u32_e32 v9, vcc, s12, v9
	s_or_b64 s[4:5], s[0:1], s[4:5]
	v_addc_co_u32_e32 v10, vcc, 0, v10, vcc
	s_waitcnt vmcnt(0)
	v_add_f64 v[11:12], v[15:16], -v[17:18]
	v_fma_f64 v[1:2], v[11:12], v[11:12], v[1:2]
	s_andn2_b64 exec, exec, s[4:5]
	s_cbranch_execnz .LBB13_2
; %bb.3:
	s_or_b64 exec, exec, s[4:5]
.LBB13_4:
	s_or_b64 exec, exec, s[2:3]
	v_mbcnt_lo_u32_b32 v3, -1, 0
	v_mbcnt_hi_u32_b32 v10, -1, v3
	v_mov_b32_e32 v3, 0x80
	v_lshl_or_b32 v5, v10, 2, v3
	ds_bpermute_b32 v3, v5, v1
	ds_bpermute_b32 v4, v5, v2
	v_and_b32_e32 v12, 63, v10
	v_cmp_gt_u32_e32 vcc, 48, v12
	v_and_b32_e32 v11, 63, v0
	s_waitcnt lgkmcnt(0)
	v_add_f64 v[1:2], v[1:2], v[3:4]
	v_cndmask_b32_e64 v3, 0, 16, vcc
	v_add_lshl_u32 v6, v3, v10, 2
	v_cmp_gt_u32_e32 vcc, 56, v12
	s_barrier
	ds_bpermute_b32 v3, v6, v1
	ds_bpermute_b32 v4, v6, v2
	s_waitcnt lgkmcnt(0)
	v_add_f64 v[1:2], v[1:2], v[3:4]
	v_cndmask_b32_e64 v3, 0, 8, vcc
	v_add_lshl_u32 v7, v3, v10, 2
	v_cmp_gt_u32_e32 vcc, 60, v12
	ds_bpermute_b32 v3, v7, v1
	ds_bpermute_b32 v4, v7, v2
	s_waitcnt lgkmcnt(0)
	v_add_f64 v[1:2], v[1:2], v[3:4]
	v_cndmask_b32_e64 v3, 0, 4, vcc
	v_add_lshl_u32 v8, v3, v10, 2
	v_cmp_gt_u32_e32 vcc, 62, v12
	ds_bpermute_b32 v3, v8, v1
	ds_bpermute_b32 v4, v8, v2
	s_waitcnt lgkmcnt(0)
	v_add_f64 v[1:2], v[1:2], v[3:4]
	v_cndmask_b32_e64 v3, 0, 2, vcc
	v_add_lshl_u32 v9, v3, v10, 2
	v_cmp_ne_u32_e32 vcc, 63, v12
	ds_bpermute_b32 v3, v9, v1
	ds_bpermute_b32 v4, v9, v2
	s_waitcnt lgkmcnt(0)
	v_add_f64 v[1:2], v[1:2], v[3:4]
	v_addc_co_u32_e32 v3, vcc, 0, v10, vcc
	v_lshlrev_b32_e32 v10, 2, v3
	v_cmp_eq_u32_e32 vcc, 0, v11
	ds_bpermute_b32 v3, v10, v1
	ds_bpermute_b32 v4, v10, v2
	s_and_saveexec_b64 s[0:1], vcc
	s_cbranch_execz .LBB13_6
; %bb.5:
	s_waitcnt lgkmcnt(0)
	v_add_f64 v[1:2], v[1:2], v[3:4]
	v_lshrrev_b32_e32 v3, 3, v0
	ds_write_b64 v3, v[1:2]
.LBB13_6:
	s_or_b64 exec, exec, s[0:1]
	s_and_b32 s0, 0xffff, s16
	s_lshr_b32 s0, s0, 6
	v_mov_b32_e32 v1, 0
	v_mov_b32_e32 v2, 0
	v_cmp_gt_u32_e32 vcc, s0, v0
	s_waitcnt lgkmcnt(0)
	s_barrier
	s_and_saveexec_b64 s[0:1], vcc
	s_cbranch_execnz .LBB13_10
; %bb.7:
	s_or_b64 exec, exec, s[0:1]
	v_cmp_gt_u32_e32 vcc, 64, v0
	s_and_saveexec_b64 s[0:1], vcc
	s_cbranch_execnz .LBB13_11
.LBB13_8:
	s_or_b64 exec, exec, s[0:1]
	v_cmp_eq_u32_e32 vcc, 0, v0
	s_and_saveexec_b64 s[0:1], vcc
	s_cbranch_execnz .LBB13_12
.LBB13_9:
	s_endpgm
.LBB13_10:
	v_lshlrev_b32_e32 v1, 3, v11
	ds_read_b64 v[1:2], v1
	s_or_b64 exec, exec, s[0:1]
	v_cmp_gt_u32_e32 vcc, 64, v0
	s_and_saveexec_b64 s[0:1], vcc
	s_cbranch_execz .LBB13_8
.LBB13_11:
	s_waitcnt lgkmcnt(0)
	ds_bpermute_b32 v3, v5, v1
	ds_bpermute_b32 v4, v5, v2
	s_waitcnt lgkmcnt(0)
	v_add_f64 v[1:2], v[1:2], v[3:4]
	ds_bpermute_b32 v3, v6, v1
	ds_bpermute_b32 v4, v6, v2
	s_waitcnt lgkmcnt(0)
	v_add_f64 v[1:2], v[1:2], v[3:4]
	;; [unrolled: 4-line block ×6, first 2 shown]
	s_or_b64 exec, exec, s[0:1]
	v_cmp_eq_u32_e32 vcc, 0, v0
	s_and_saveexec_b64 s[0:1], vcc
	s_cbranch_execz .LBB13_9
.LBB13_12:
	s_mov_b32 s0, 0
	s_brev_b32 s1, 8
	s_waitcnt lgkmcnt(0)
	v_cmp_gt_f64_e32 vcc, s[0:1], v[1:2]
	v_mov_b32_e32 v0, 0x100
	s_lshl_b64 s[0:1], s[6:7], 3
	s_add_u32 s0, s8, s0
	s_addc_u32 s1, s9, s1
	v_cndmask_b32_e32 v0, 0, v0, vcc
	v_ldexp_f64 v[0:1], v[1:2], v0
	v_rsq_f64_e32 v[2:3], v[0:1]
	v_mul_f64 v[4:5], v[0:1], v[2:3]
	v_mul_f64 v[2:3], v[2:3], 0.5
	v_fma_f64 v[6:7], -v[2:3], v[4:5], 0.5
	v_fma_f64 v[4:5], v[4:5], v[6:7], v[4:5]
	v_fma_f64 v[2:3], v[2:3], v[6:7], v[2:3]
	v_fma_f64 v[6:7], -v[4:5], v[4:5], v[0:1]
	v_fma_f64 v[4:5], v[6:7], v[2:3], v[4:5]
	v_fma_f64 v[6:7], -v[4:5], v[4:5], v[0:1]
	v_fma_f64 v[2:3], v[6:7], v[2:3], v[4:5]
	v_mov_b32_e32 v4, 0xffffff80
	v_mov_b32_e32 v5, 0x260
	v_cndmask_b32_e32 v4, 0, v4, vcc
	v_cmp_class_f64_e32 vcc, v[0:1], v5
	v_ldexp_f64 v[2:3], v[2:3], v4
	v_mov_b32_e32 v4, 0
	v_cndmask_b32_e32 v1, v3, v1, vcc
	v_cndmask_b32_e32 v0, v2, v0, vcc
	global_store_dwordx2 v4, v[0:1], s[0:1]
	s_endpgm
	.section	.rodata,"a",@progbits
	.p2align	6, 0x0
	.amdhsa_kernel _ZN2at6native12_GLOBAL__N_122pdist_kernel_cuda_implIdNS1_5distsIdE3twoEEEvPT_PKS6_llS6_dd
		.amdhsa_group_segment_fixed_size 2048
		.amdhsa_private_segment_fixed_size 0
		.amdhsa_kernarg_size 312
		.amdhsa_user_sgpr_count 6
		.amdhsa_user_sgpr_private_segment_buffer 1
		.amdhsa_user_sgpr_dispatch_ptr 0
		.amdhsa_user_sgpr_queue_ptr 0
		.amdhsa_user_sgpr_kernarg_segment_ptr 1
		.amdhsa_user_sgpr_dispatch_id 0
		.amdhsa_user_sgpr_flat_scratch_init 0
		.amdhsa_user_sgpr_private_segment_size 0
		.amdhsa_uses_dynamic_stack 0
		.amdhsa_system_sgpr_private_segment_wavefront_offset 0
		.amdhsa_system_sgpr_workgroup_id_x 1
		.amdhsa_system_sgpr_workgroup_id_y 0
		.amdhsa_system_sgpr_workgroup_id_z 0
		.amdhsa_system_sgpr_workgroup_info 0
		.amdhsa_system_vgpr_workitem_id 0
		.amdhsa_next_free_vgpr 29
		.amdhsa_next_free_sgpr 61
		.amdhsa_reserve_vcc 1
		.amdhsa_reserve_flat_scratch 0
		.amdhsa_float_round_mode_32 0
		.amdhsa_float_round_mode_16_64 0
		.amdhsa_float_denorm_mode_32 3
		.amdhsa_float_denorm_mode_16_64 3
		.amdhsa_dx10_clamp 1
		.amdhsa_ieee_mode 1
		.amdhsa_fp16_overflow 0
		.amdhsa_exception_fp_ieee_invalid_op 0
		.amdhsa_exception_fp_denorm_src 0
		.amdhsa_exception_fp_ieee_div_zero 0
		.amdhsa_exception_fp_ieee_overflow 0
		.amdhsa_exception_fp_ieee_underflow 0
		.amdhsa_exception_fp_ieee_inexact 0
		.amdhsa_exception_int_div_zero 0
	.end_amdhsa_kernel
	.section	.text._ZN2at6native12_GLOBAL__N_122pdist_kernel_cuda_implIdNS1_5distsIdE3twoEEEvPT_PKS6_llS6_dd,"axG",@progbits,_ZN2at6native12_GLOBAL__N_122pdist_kernel_cuda_implIdNS1_5distsIdE3twoEEEvPT_PKS6_llS6_dd,comdat
.Lfunc_end13:
	.size	_ZN2at6native12_GLOBAL__N_122pdist_kernel_cuda_implIdNS1_5distsIdE3twoEEEvPT_PKS6_llS6_dd, .Lfunc_end13-_ZN2at6native12_GLOBAL__N_122pdist_kernel_cuda_implIdNS1_5distsIdE3twoEEEvPT_PKS6_llS6_dd
                                        ; -- End function
	.set _ZN2at6native12_GLOBAL__N_122pdist_kernel_cuda_implIdNS1_5distsIdE3twoEEEvPT_PKS6_llS6_dd.num_vgpr, 19
	.set _ZN2at6native12_GLOBAL__N_122pdist_kernel_cuda_implIdNS1_5distsIdE3twoEEEvPT_PKS6_llS6_dd.num_agpr, 0
	.set _ZN2at6native12_GLOBAL__N_122pdist_kernel_cuda_implIdNS1_5distsIdE3twoEEEvPT_PKS6_llS6_dd.numbered_sgpr, 24
	.set _ZN2at6native12_GLOBAL__N_122pdist_kernel_cuda_implIdNS1_5distsIdE3twoEEEvPT_PKS6_llS6_dd.num_named_barrier, 0
	.set _ZN2at6native12_GLOBAL__N_122pdist_kernel_cuda_implIdNS1_5distsIdE3twoEEEvPT_PKS6_llS6_dd.private_seg_size, 0
	.set _ZN2at6native12_GLOBAL__N_122pdist_kernel_cuda_implIdNS1_5distsIdE3twoEEEvPT_PKS6_llS6_dd.uses_vcc, 1
	.set _ZN2at6native12_GLOBAL__N_122pdist_kernel_cuda_implIdNS1_5distsIdE3twoEEEvPT_PKS6_llS6_dd.uses_flat_scratch, 0
	.set _ZN2at6native12_GLOBAL__N_122pdist_kernel_cuda_implIdNS1_5distsIdE3twoEEEvPT_PKS6_llS6_dd.has_dyn_sized_stack, 0
	.set _ZN2at6native12_GLOBAL__N_122pdist_kernel_cuda_implIdNS1_5distsIdE3twoEEEvPT_PKS6_llS6_dd.has_recursion, 0
	.set _ZN2at6native12_GLOBAL__N_122pdist_kernel_cuda_implIdNS1_5distsIdE3twoEEEvPT_PKS6_llS6_dd.has_indirect_call, 0
	.section	.AMDGPU.csdata,"",@progbits
; Kernel info:
; codeLenInByte = 1460
; TotalNumSgprs: 28
; NumVgprs: 19
; ScratchSize: 0
; MemoryBound: 0
; FloatMode: 240
; IeeeMode: 1
; LDSByteSize: 2048 bytes/workgroup (compile time only)
; SGPRBlocks: 8
; VGPRBlocks: 7
; NumSGPRsForWavesPerEU: 65
; NumVGPRsForWavesPerEU: 29
; Occupancy: 8
; WaveLimiterHint : 0
; COMPUTE_PGM_RSRC2:SCRATCH_EN: 0
; COMPUTE_PGM_RSRC2:USER_SGPR: 6
; COMPUTE_PGM_RSRC2:TRAP_HANDLER: 0
; COMPUTE_PGM_RSRC2:TGID_X_EN: 1
; COMPUTE_PGM_RSRC2:TGID_Y_EN: 0
; COMPUTE_PGM_RSRC2:TGID_Z_EN: 0
; COMPUTE_PGM_RSRC2:TIDIG_COMP_CNT: 0
	.section	.text._ZN2at6native12_GLOBAL__N_122pdist_kernel_cuda_implIdNS1_5distsIdE3infEEEvPT_PKS6_llS6_dd,"axG",@progbits,_ZN2at6native12_GLOBAL__N_122pdist_kernel_cuda_implIdNS1_5distsIdE3infEEEvPT_PKS6_llS6_dd,comdat
	.globl	_ZN2at6native12_GLOBAL__N_122pdist_kernel_cuda_implIdNS1_5distsIdE3infEEEvPT_PKS6_llS6_dd ; -- Begin function _ZN2at6native12_GLOBAL__N_122pdist_kernel_cuda_implIdNS1_5distsIdE3infEEEvPT_PKS6_llS6_dd
	.p2align	8
	.type	_ZN2at6native12_GLOBAL__N_122pdist_kernel_cuda_implIdNS1_5distsIdE3infEEEvPT_PKS6_llS6_dd,@function
_ZN2at6native12_GLOBAL__N_122pdist_kernel_cuda_implIdNS1_5distsIdE3infEEEvPT_PKS6_llS6_dd: ; @_ZN2at6native12_GLOBAL__N_122pdist_kernel_cuda_implIdNS1_5distsIdE3infEEEvPT_PKS6_llS6_dd
; %bb.0:
	s_load_dwordx8 s[8:15], s[4:5], 0x0
	s_load_dword s18, s[4:5], 0x44
	v_mov_b32_e32 v1, 0
	s_mov_b32 s7, 0
	s_waitcnt lgkmcnt(0)
	v_cmp_gt_i64_e32 vcc, s[14:15], v[0:1]
	v_mov_b32_e32 v1, 0
	v_mov_b32_e32 v2, 0
	s_and_saveexec_b64 s[16:17], vcc
	s_cbranch_execz .LBB14_4
; %bb.1:
	s_lshl_b64 s[0:1], s[6:7], 1
	v_cvt_f64_u32_e32 v[1:2], s1
	v_cvt_f64_u32_e32 v[3:4], s0
	s_load_dwordx4 s[0:3], s[4:5], 0x28
	v_mov_b32_e32 v10, s11
	v_ldexp_f64 v[1:2], v[1:2], 32
	s_mov_b64 s[4:5], 0
	v_add_f64 v[1:2], v[1:2], v[3:4]
	s_waitcnt lgkmcnt(0)
	v_add_f64 v[1:2], s[2:3], -v[1:2]
	s_mov_b32 s2, 0
	s_brev_b32 s3, 8
	v_cmp_gt_f64_e32 vcc, s[2:3], v[1:2]
	s_and_b64 s[2:3], vcc, exec
	s_cselect_b32 s2, 0x100, 0
	v_ldexp_f64 v[1:2], v[1:2], s2
	s_cselect_b32 s2, 0xffffff80, 0
	v_rsq_f64_e32 v[3:4], v[1:2]
	v_mul_f64 v[5:6], v[1:2], v[3:4]
	v_mul_f64 v[3:4], v[3:4], 0.5
	v_fma_f64 v[7:8], -v[3:4], v[5:6], 0.5
	v_fma_f64 v[5:6], v[5:6], v[7:8], v[5:6]
	v_fma_f64 v[3:4], v[3:4], v[7:8], v[3:4]
	v_fma_f64 v[7:8], -v[5:6], v[5:6], v[1:2]
	v_fma_f64 v[5:6], v[7:8], v[3:4], v[5:6]
	v_fma_f64 v[7:8], -v[5:6], v[5:6], v[1:2]
	v_fma_f64 v[3:4], v[7:8], v[3:4], v[5:6]
	v_mov_b32_e32 v5, 0x260
	v_cmp_class_f64_e32 vcc, v[1:2], v5
	v_mov_b32_e32 v7, s11
	v_lshlrev_b32_e32 v8, 3, v0
	v_ldexp_f64 v[3:4], v[3:4], s2
	v_cndmask_b32_e32 v2, v4, v2, vcc
	v_cndmask_b32_e32 v1, v3, v1, vcc
	v_add_f64 v[1:2], s[0:1], -v[1:2]
	s_movk_i32 s0, 0xffe0
	v_add_co_u32_e32 v9, vcc, s10, v8
	v_addc_co_u32_e32 v10, vcc, 0, v10, vcc
	v_trunc_f64_e32 v[3:4], v[1:2]
	v_ldexp_f64 v[1:2], v[3:4], s0
	s_mov_b32 s0, 0
	s_mov_b32 s1, 0xc1f00000
	v_floor_f64_e32 v[5:6], v[1:2]
	v_mov_b32_e32 v1, 0
	v_mov_b32_e32 v2, 0
	v_fma_f64 v[3:4], v[5:6], s[0:1], v[3:4]
	v_cvt_i32_f64_e32 v5, v[5:6]
	s_lshl_b64 s[0:1], s[14:15], 3
	v_mov_b32_e32 v6, s1
	v_readfirstlane_b32 s1, v5
	s_mul_i32 s2, s12, s1
	v_cvt_u32_f64_e32 v3, v[3:4]
	v_mul_lo_u32 v4, s14, v5
	v_mul_hi_u32 v11, s14, v3
	v_readfirstlane_b32 s3, v3
	v_mul_lo_u32 v5, s15, v3
	v_mul_lo_u32 v3, s14, v3
	s_add_u32 s11, s3, 1
	s_addc_u32 s20, s1, 0
	s_mul_hi_u32 s19, s12, s3
	s_mul_hi_u32 s21, s11, s3
	s_mul_i32 s1, s11, s1
	s_mul_i32 s22, s11, s3
	s_add_u32 s11, s11, s6
	v_add_u32_e32 v4, v11, v4
	s_mul_i32 s13, s13, s3
	s_mul_i32 s12, s12, s3
	s_mul_i32 s3, s20, s3
	s_addc_u32 s20, s20, 0
	s_add_i32 s2, s19, s2
	v_add_u32_e32 v4, v4, v5
	s_add_i32 s2, s2, s13
	v_lshlrev_b64 v[3:4], 3, v[3:4]
	s_sub_u32 s11, s11, s12
	s_subb_u32 s2, s20, s2
	s_add_i32 s1, s21, s1
	v_add_co_u32_e32 v11, vcc, s10, v3
	v_addc_co_u32_e32 v12, vcc, v7, v4, vcc
	s_add_i32 s1, s1, s3
	v_add_co_u32_e32 v5, vcc, s0, v11
	s_lshr_b32 s0, s1, 31
	s_add_u32 s0, s22, s0
	s_addc_u32 s1, s1, 0
	s_ashr_i64 s[0:1], s[0:1], 1
	s_add_u32 s0, s11, s0
	s_addc_u32 s1, s2, s1
	s_mul_hi_u32 s3, s14, s0
	s_mul_i32 s1, s14, s1
	v_addc_co_u32_e32 v6, vcc, v12, v6, vcc
	s_mul_i32 s10, s15, s0
	s_add_i32 s1, s3, s1
	v_add_co_u32_e32 v7, vcc, v11, v8
	s_and_b32 s2, s18, 0xffff
	s_mul_i32 s0, s14, s0
	s_add_i32 s1, s1, s10
	v_addc_co_u32_e32 v8, vcc, 0, v12, vcc
	s_lshl_b32 s12, s2, 3
	s_lshl_b64 s[10:11], s[0:1], 3
	s_lshl_b32 s13, s2, 3
.LBB14_2:                               ; =>This Inner Loop Header: Depth=1
	v_add_co_u32_e32 v11, vcc, v9, v3
	v_addc_co_u32_e32 v12, vcc, v10, v4, vcc
	v_mov_b32_e32 v14, s11
	v_add_co_u32_e32 v13, vcc, s10, v9
	v_addc_co_u32_e32 v14, vcc, v10, v14, vcc
	global_load_dwordx2 v[15:16], v[11:12], off
	global_load_dwordx2 v[17:18], v[13:14], off
	v_add_co_u32_e32 v7, vcc, s13, v7
	v_addc_co_u32_e32 v8, vcc, 0, v8, vcc
	v_cmp_ge_u64_e64 s[2:3], v[7:8], v[5:6]
	v_add_co_u32_e64 v9, s[0:1], s12, v9
	v_addc_co_u32_e64 v10, s[0:1], 0, v10, s[0:1]
	s_or_b64 s[4:5], s[2:3], s[4:5]
	s_waitcnt vmcnt(0)
	v_add_f64 v[11:12], v[15:16], -v[17:18]
	v_cmp_gt_f64_e64 vcc, |v[11:12]|, v[1:2]
	v_and_b32_e32 v13, 0x7fffffff, v12
	v_cndmask_b32_e32 v2, v2, v13, vcc
	v_cndmask_b32_e32 v1, v1, v11, vcc
	s_andn2_b64 exec, exec, s[4:5]
	s_cbranch_execnz .LBB14_2
; %bb.3:
	s_or_b64 exec, exec, s[4:5]
.LBB14_4:
	s_or_b64 exec, exec, s[16:17]
	v_mbcnt_lo_u32_b32 v3, -1, 0
	v_mbcnt_hi_u32_b32 v10, -1, v3
	v_mov_b32_e32 v3, 0x80
	v_lshl_or_b32 v5, v10, 2, v3
	ds_bpermute_b32 v3, v5, v1
	ds_bpermute_b32 v4, v5, v2
	v_and_b32_e32 v12, 63, v10
	v_cmp_gt_u32_e64 s[0:1], 48, v12
	v_cndmask_b32_e64 v6, 0, 16, s[0:1]
	v_add_lshl_u32 v6, v6, v10, 2
	s_waitcnt lgkmcnt(0)
	v_cmp_lt_f64_e32 vcc, v[1:2], v[3:4]
	v_cmp_gt_u32_e64 s[0:1], 56, v12
	v_cndmask_b32_e64 v7, 0, 8, s[0:1]
	v_add_lshl_u32 v7, v7, v10, 2
	v_cmp_gt_u32_e64 s[0:1], 60, v12
	v_cndmask_b32_e64 v8, 0, 4, s[0:1]
	v_add_lshl_u32 v8, v8, v10, 2
	v_cmp_gt_u32_e64 s[0:1], 62, v12
	v_cndmask_b32_e32 v2, v2, v4, vcc
	v_cndmask_b32_e32 v1, v1, v3, vcc
	ds_bpermute_b32 v4, v6, v2
	ds_bpermute_b32 v3, v6, v1
	v_cndmask_b32_e64 v9, 0, 2, s[0:1]
	v_add_lshl_u32 v9, v9, v10, 2
	v_cmp_ne_u32_e64 s[0:1], 63, v12
	v_addc_co_u32_e64 v10, s[0:1], 0, v10, s[0:1]
	s_waitcnt lgkmcnt(0)
	v_cmp_lt_f64_e32 vcc, v[1:2], v[3:4]
	v_lshlrev_b32_e32 v10, 2, v10
	v_and_b32_e32 v11, 63, v0
	s_barrier
	v_cndmask_b32_e32 v2, v2, v4, vcc
	v_cndmask_b32_e32 v1, v1, v3, vcc
	ds_bpermute_b32 v4, v7, v2
	ds_bpermute_b32 v3, v7, v1
	s_waitcnt lgkmcnt(0)
	v_cmp_lt_f64_e32 vcc, v[1:2], v[3:4]
	v_cndmask_b32_e32 v2, v2, v4, vcc
	v_cndmask_b32_e32 v1, v1, v3, vcc
	ds_bpermute_b32 v4, v8, v2
	ds_bpermute_b32 v3, v8, v1
	s_waitcnt lgkmcnt(0)
	v_cmp_lt_f64_e32 vcc, v[1:2], v[3:4]
	;; [unrolled: 6-line block ×3, first 2 shown]
	v_cndmask_b32_e32 v2, v2, v4, vcc
	v_cndmask_b32_e32 v1, v1, v3, vcc
	ds_bpermute_b32 v3, v10, v1
	ds_bpermute_b32 v12, v10, v2
	v_cmp_eq_u32_e32 vcc, 0, v11
	s_and_saveexec_b64 s[0:1], vcc
	s_cbranch_execz .LBB14_6
; %bb.5:
	s_waitcnt lgkmcnt(0)
	v_mov_b32_e32 v4, v12
	v_cmp_lt_f64_e32 vcc, v[1:2], v[3:4]
	v_lshrrev_b32_e32 v4, 3, v0
	v_cndmask_b32_e32 v2, v2, v12, vcc
	v_cndmask_b32_e32 v1, v1, v3, vcc
	ds_write_b64 v4, v[1:2]
.LBB14_6:
	s_or_b64 exec, exec, s[0:1]
	s_and_b32 s0, 0xffff, s18
	s_lshr_b32 s0, s0, 6
	v_mov_b32_e32 v1, 0
	v_mov_b32_e32 v2, 0
	v_cmp_gt_u32_e32 vcc, s0, v0
	s_waitcnt lgkmcnt(0)
	s_barrier
	s_and_saveexec_b64 s[0:1], vcc
	s_cbranch_execnz .LBB14_10
; %bb.7:
	s_or_b64 exec, exec, s[0:1]
	v_cmp_gt_u32_e32 vcc, 64, v0
	s_and_saveexec_b64 s[0:1], vcc
	s_cbranch_execnz .LBB14_11
.LBB14_8:
	s_or_b64 exec, exec, s[0:1]
	v_cmp_eq_u32_e32 vcc, 0, v0
	s_and_saveexec_b64 s[0:1], vcc
	s_cbranch_execnz .LBB14_12
.LBB14_9:
	s_endpgm
.LBB14_10:
	v_lshlrev_b32_e32 v1, 3, v11
	ds_read_b64 v[1:2], v1
	s_or_b64 exec, exec, s[0:1]
	v_cmp_gt_u32_e32 vcc, 64, v0
	s_and_saveexec_b64 s[0:1], vcc
	s_cbranch_execz .LBB14_8
.LBB14_11:
	s_waitcnt lgkmcnt(0)
	ds_bpermute_b32 v11, v5, v2
	ds_bpermute_b32 v3, v5, v1
	s_waitcnt lgkmcnt(1)
	v_mov_b32_e32 v4, v11
	s_waitcnt lgkmcnt(0)
	v_cmp_lt_f64_e32 vcc, v[1:2], v[3:4]
	v_cndmask_b32_e32 v2, v2, v11, vcc
	ds_bpermute_b32 v5, v6, v2
	v_cndmask_b32_e32 v1, v1, v3, vcc
	ds_bpermute_b32 v3, v6, v1
	s_waitcnt lgkmcnt(1)
	v_mov_b32_e32 v4, v5
	s_waitcnt lgkmcnt(0)
	v_cmp_lt_f64_e32 vcc, v[1:2], v[3:4]
	v_cndmask_b32_e32 v2, v2, v5, vcc
	ds_bpermute_b32 v5, v7, v2
	v_cndmask_b32_e32 v1, v1, v3, vcc
	;; [unrolled: 8-line block ×4, first 2 shown]
	ds_bpermute_b32 v3, v9, v1
	s_waitcnt lgkmcnt(1)
	v_mov_b32_e32 v4, v5
	s_waitcnt lgkmcnt(0)
	v_cmp_lt_f64_e32 vcc, v[1:2], v[3:4]
	v_cndmask_b32_e32 v2, v2, v5, vcc
	v_cndmask_b32_e32 v1, v1, v3, vcc
	ds_bpermute_b32 v5, v10, v2
	ds_bpermute_b32 v3, v10, v1
	s_waitcnt lgkmcnt(1)
	v_mov_b32_e32 v4, v5
	s_waitcnt lgkmcnt(0)
	v_cmp_lt_f64_e32 vcc, v[1:2], v[3:4]
	v_cndmask_b32_e32 v2, v2, v5, vcc
	v_cndmask_b32_e32 v1, v1, v3, vcc
	s_or_b64 exec, exec, s[0:1]
	v_cmp_eq_u32_e32 vcc, 0, v0
	s_and_saveexec_b64 s[0:1], vcc
	s_cbranch_execz .LBB14_9
.LBB14_12:
	s_lshl_b64 s[0:1], s[6:7], 3
	s_add_u32 s0, s8, s0
	s_addc_u32 s1, s9, s1
	v_mov_b32_e32 v0, 0
	s_waitcnt lgkmcnt(0)
	global_store_dwordx2 v0, v[1:2], s[0:1]
	s_endpgm
	.section	.rodata,"a",@progbits
	.p2align	6, 0x0
	.amdhsa_kernel _ZN2at6native12_GLOBAL__N_122pdist_kernel_cuda_implIdNS1_5distsIdE3infEEEvPT_PKS6_llS6_dd
		.amdhsa_group_segment_fixed_size 2048
		.amdhsa_private_segment_fixed_size 0
		.amdhsa_kernarg_size 312
		.amdhsa_user_sgpr_count 6
		.amdhsa_user_sgpr_private_segment_buffer 1
		.amdhsa_user_sgpr_dispatch_ptr 0
		.amdhsa_user_sgpr_queue_ptr 0
		.amdhsa_user_sgpr_kernarg_segment_ptr 1
		.amdhsa_user_sgpr_dispatch_id 0
		.amdhsa_user_sgpr_flat_scratch_init 0
		.amdhsa_user_sgpr_private_segment_size 0
		.amdhsa_uses_dynamic_stack 0
		.amdhsa_system_sgpr_private_segment_wavefront_offset 0
		.amdhsa_system_sgpr_workgroup_id_x 1
		.amdhsa_system_sgpr_workgroup_id_y 0
		.amdhsa_system_sgpr_workgroup_id_z 0
		.amdhsa_system_sgpr_workgroup_info 0
		.amdhsa_system_vgpr_workitem_id 0
		.amdhsa_next_free_vgpr 29
		.amdhsa_next_free_sgpr 61
		.amdhsa_reserve_vcc 1
		.amdhsa_reserve_flat_scratch 0
		.amdhsa_float_round_mode_32 0
		.amdhsa_float_round_mode_16_64 0
		.amdhsa_float_denorm_mode_32 3
		.amdhsa_float_denorm_mode_16_64 3
		.amdhsa_dx10_clamp 1
		.amdhsa_ieee_mode 1
		.amdhsa_fp16_overflow 0
		.amdhsa_exception_fp_ieee_invalid_op 0
		.amdhsa_exception_fp_denorm_src 0
		.amdhsa_exception_fp_ieee_div_zero 0
		.amdhsa_exception_fp_ieee_overflow 0
		.amdhsa_exception_fp_ieee_underflow 0
		.amdhsa_exception_fp_ieee_inexact 0
		.amdhsa_exception_int_div_zero 0
	.end_amdhsa_kernel
	.section	.text._ZN2at6native12_GLOBAL__N_122pdist_kernel_cuda_implIdNS1_5distsIdE3infEEEvPT_PKS6_llS6_dd,"axG",@progbits,_ZN2at6native12_GLOBAL__N_122pdist_kernel_cuda_implIdNS1_5distsIdE3infEEEvPT_PKS6_llS6_dd,comdat
.Lfunc_end14:
	.size	_ZN2at6native12_GLOBAL__N_122pdist_kernel_cuda_implIdNS1_5distsIdE3infEEEvPT_PKS6_llS6_dd, .Lfunc_end14-_ZN2at6native12_GLOBAL__N_122pdist_kernel_cuda_implIdNS1_5distsIdE3infEEEvPT_PKS6_llS6_dd
                                        ; -- End function
	.set _ZN2at6native12_GLOBAL__N_122pdist_kernel_cuda_implIdNS1_5distsIdE3infEEEvPT_PKS6_llS6_dd.num_vgpr, 19
	.set _ZN2at6native12_GLOBAL__N_122pdist_kernel_cuda_implIdNS1_5distsIdE3infEEEvPT_PKS6_llS6_dd.num_agpr, 0
	.set _ZN2at6native12_GLOBAL__N_122pdist_kernel_cuda_implIdNS1_5distsIdE3infEEEvPT_PKS6_llS6_dd.numbered_sgpr, 23
	.set _ZN2at6native12_GLOBAL__N_122pdist_kernel_cuda_implIdNS1_5distsIdE3infEEEvPT_PKS6_llS6_dd.num_named_barrier, 0
	.set _ZN2at6native12_GLOBAL__N_122pdist_kernel_cuda_implIdNS1_5distsIdE3infEEEvPT_PKS6_llS6_dd.private_seg_size, 0
	.set _ZN2at6native12_GLOBAL__N_122pdist_kernel_cuda_implIdNS1_5distsIdE3infEEEvPT_PKS6_llS6_dd.uses_vcc, 1
	.set _ZN2at6native12_GLOBAL__N_122pdist_kernel_cuda_implIdNS1_5distsIdE3infEEEvPT_PKS6_llS6_dd.uses_flat_scratch, 0
	.set _ZN2at6native12_GLOBAL__N_122pdist_kernel_cuda_implIdNS1_5distsIdE3infEEEvPT_PKS6_llS6_dd.has_dyn_sized_stack, 0
	.set _ZN2at6native12_GLOBAL__N_122pdist_kernel_cuda_implIdNS1_5distsIdE3infEEEvPT_PKS6_llS6_dd.has_recursion, 0
	.set _ZN2at6native12_GLOBAL__N_122pdist_kernel_cuda_implIdNS1_5distsIdE3infEEEvPT_PKS6_llS6_dd.has_indirect_call, 0
	.section	.AMDGPU.csdata,"",@progbits
; Kernel info:
; codeLenInByte = 1460
; TotalNumSgprs: 27
; NumVgprs: 19
; ScratchSize: 0
; MemoryBound: 0
; FloatMode: 240
; IeeeMode: 1
; LDSByteSize: 2048 bytes/workgroup (compile time only)
; SGPRBlocks: 8
; VGPRBlocks: 7
; NumSGPRsForWavesPerEU: 65
; NumVGPRsForWavesPerEU: 29
; Occupancy: 8
; WaveLimiterHint : 0
; COMPUTE_PGM_RSRC2:SCRATCH_EN: 0
; COMPUTE_PGM_RSRC2:USER_SGPR: 6
; COMPUTE_PGM_RSRC2:TRAP_HANDLER: 0
; COMPUTE_PGM_RSRC2:TGID_X_EN: 1
; COMPUTE_PGM_RSRC2:TGID_Y_EN: 0
; COMPUTE_PGM_RSRC2:TGID_Z_EN: 0
; COMPUTE_PGM_RSRC2:TIDIG_COMP_CNT: 0
	.section	.text._ZN2at6native12_GLOBAL__N_122pdist_kernel_cuda_implIfNS1_5distsIfE1pEEEvPT_PKS6_llS6_dd,"axG",@progbits,_ZN2at6native12_GLOBAL__N_122pdist_kernel_cuda_implIfNS1_5distsIfE1pEEEvPT_PKS6_llS6_dd,comdat
	.globl	_ZN2at6native12_GLOBAL__N_122pdist_kernel_cuda_implIfNS1_5distsIfE1pEEEvPT_PKS6_llS6_dd ; -- Begin function _ZN2at6native12_GLOBAL__N_122pdist_kernel_cuda_implIfNS1_5distsIfE1pEEEvPT_PKS6_llS6_dd
	.p2align	8
	.type	_ZN2at6native12_GLOBAL__N_122pdist_kernel_cuda_implIfNS1_5distsIfE1pEEEvPT_PKS6_llS6_dd,@function
_ZN2at6native12_GLOBAL__N_122pdist_kernel_cuda_implIfNS1_5distsIfE1pEEEvPT_PKS6_llS6_dd: ; @_ZN2at6native12_GLOBAL__N_122pdist_kernel_cuda_implIfNS1_5distsIfE1pEEEvPT_PKS6_llS6_dd
; %bb.0:
	s_load_dwordx8 s[12:19], s[4:5], 0x0
	s_load_dword s22, s[4:5], 0x20
	s_load_dword s23, s[4:5], 0x44
	v_mov_b32_e32 v1, 0
	s_mov_b32 s7, 0
	s_waitcnt lgkmcnt(0)
	v_cmp_gt_i64_e32 vcc, s[18:19], v[0:1]
	s_and_saveexec_b64 s[10:11], vcc
	s_cbranch_execz .LBB15_4
; %bb.1:
	s_lshl_b64 s[0:1], s[6:7], 1
	v_cvt_f64_u32_e32 v[1:2], s1
	v_cvt_f64_u32_e32 v[3:4], s0
	s_load_dwordx4 s[0:3], s[4:5], 0x28
	v_mov_b32_e32 v10, s15
	v_ldexp_f64 v[1:2], v[1:2], 32
	s_mov_b64 s[20:21], 0
	s_mov_b32 s24, 0x3f2aaaab
	s_mov_b32 s25, 0x3f317218
	s_movk_i32 s26, 0x204
	s_mov_b32 s27, 0x7f800000
	s_mov_b32 s28, 0x42b17218
	s_mov_b32 s29, 0x3fb8aa3b
	v_add_f64 v[1:2], v[1:2], v[3:4]
	s_mov_b32 s30, 0xc2ce8ed0
	s_waitcnt lgkmcnt(0)
	v_add_f64 v[1:2], s[2:3], -v[1:2]
	s_mov_b32 s2, 0
	s_brev_b32 s3, 8
	v_cmp_gt_f64_e32 vcc, s[2:3], v[1:2]
	s_and_b64 s[2:3], vcc, exec
	s_cselect_b32 s2, 0x100, 0
	v_ldexp_f64 v[1:2], v[1:2], s2
	s_cselect_b32 s2, 0xffffff80, 0
	v_rsq_f64_e32 v[3:4], v[1:2]
	v_mul_f64 v[5:6], v[1:2], v[3:4]
	v_mul_f64 v[3:4], v[3:4], 0.5
	v_fma_f64 v[7:8], -v[3:4], v[5:6], 0.5
	v_fma_f64 v[5:6], v[5:6], v[7:8], v[5:6]
	v_fma_f64 v[3:4], v[3:4], v[7:8], v[3:4]
	v_fma_f64 v[7:8], -v[5:6], v[5:6], v[1:2]
	v_fma_f64 v[5:6], v[7:8], v[3:4], v[5:6]
	v_fma_f64 v[7:8], -v[5:6], v[5:6], v[1:2]
	v_fma_f64 v[3:4], v[7:8], v[3:4], v[5:6]
	v_mov_b32_e32 v5, 0x260
	v_cmp_class_f64_e32 vcc, v[1:2], v5
	v_mov_b32_e32 v6, s15
	v_lshlrev_b32_e32 v7, 2, v0
	v_mov_b32_e32 v8, 0x7f800000
	v_ldexp_f64 v[3:4], v[3:4], s2
	v_cndmask_b32_e32 v2, v4, v2, vcc
	v_cndmask_b32_e32 v1, v3, v1, vcc
	v_add_f64 v[1:2], s[0:1], -v[1:2]
	s_movk_i32 s0, 0xffe0
	v_add_co_u32_e32 v9, vcc, s14, v7
	v_addc_co_u32_e32 v10, vcc, 0, v10, vcc
	v_trunc_f64_e32 v[2:3], v[1:2]
	v_mov_b32_e32 v1, 0
	v_ldexp_f64 v[4:5], v[2:3], s0
	s_mov_b32 s0, 0
	s_mov_b32 s1, 0xc1f00000
	v_floor_f64_e32 v[4:5], v[4:5]
	v_fma_f64 v[2:3], v[4:5], s[0:1], v[2:3]
	v_cvt_i32_f64_e32 v4, v[4:5]
	s_lshl_b64 s[0:1], s[18:19], 2
	v_mov_b32_e32 v5, s1
	v_readfirstlane_b32 s1, v4
	s_mul_i32 s2, s16, s1
	v_cvt_u32_f64_e32 v2, v[2:3]
	v_mul_lo_u32 v3, s18, v4
	v_mul_hi_u32 v11, s18, v2
	v_readfirstlane_b32 s3, v2
	v_mul_lo_u32 v4, s19, v2
	v_mul_lo_u32 v2, s18, v2
	s_add_u32 s4, s3, 1
	s_addc_u32 s15, s1, 0
	s_mul_i32 s5, s17, s3
	s_mul_hi_u32 s8, s16, s3
	s_mul_i32 s9, s16, s3
	s_mul_hi_u32 s16, s4, s3
	s_mul_i32 s1, s4, s1
	s_mul_i32 s17, s4, s3
	s_add_u32 s4, s4, s6
	v_add_u32_e32 v3, v11, v3
	s_mul_i32 s3, s15, s3
	s_addc_u32 s15, s15, 0
	s_add_i32 s2, s8, s2
	v_add_u32_e32 v3, v3, v4
	s_add_i32 s2, s2, s5
	v_lshlrev_b64 v[2:3], 2, v[2:3]
	s_sub_u32 s4, s4, s9
	s_subb_u32 s2, s15, s2
	s_add_i32 s1, s16, s1
	v_add_co_u32_e32 v11, vcc, s14, v2
	v_addc_co_u32_e32 v12, vcc, v6, v3, vcc
	s_add_i32 s1, s1, s3
	v_add_co_u32_e32 v4, vcc, s0, v11
	s_lshr_b32 s0, s1, 31
	s_add_u32 s0, s17, s0
	s_addc_u32 s1, s1, 0
	s_ashr_i64 s[0:1], s[0:1], 1
	s_add_u32 s0, s4, s0
	s_addc_u32 s1, s2, s1
	s_mul_hi_u32 s3, s18, s0
	s_mul_i32 s1, s18, s1
	v_addc_co_u32_e32 v5, vcc, v12, v5, vcc
	s_mul_i32 s4, s19, s0
	s_add_i32 s1, s3, s1
	v_add_co_u32_e32 v6, vcc, v11, v7
	s_and_b32 s2, s23, 0xffff
	s_mul_i32 s0, s18, s0
	s_add_i32 s1, s1, s4
	v_addc_co_u32_e32 v7, vcc, 0, v12, vcc
	s_lshl_b32 s16, s2, 2
	s_lshl_b32 s17, s2, 2
	s_lshl_b64 s[14:15], s[0:1], 2
	v_mov_b32_e32 v11, 0x7fc00000
.LBB15_2:                               ; =>This Inner Loop Header: Depth=1
	v_add_co_u32_e32 v12, vcc, v9, v2
	v_addc_co_u32_e32 v13, vcc, v10, v3, vcc
	v_mov_b32_e32 v15, s15
	v_add_co_u32_e32 v14, vcc, s14, v9
	v_addc_co_u32_e32 v15, vcc, v10, v15, vcc
	global_load_dword v17, v[12:13], off
	global_load_dword v18, v[14:15], off
	v_mov_b32_e32 v16, s22
	v_add_co_u32_e64 v6, s[0:1], s17, v6
	v_addc_co_u32_e64 v7, s[0:1], 0, v7, s[0:1]
	v_cmp_ge_u64_e64 s[0:1], v[6:7], v[4:5]
	s_waitcnt vmcnt(0)
	v_sub_f32_e32 v13, v17, v18
	v_cmp_neq_f32_e64 vcc, |v13|, 1.0
	v_cndmask_b32_e32 v12, 1.0, v16, vcc
	v_cmp_neq_f32_e32 vcc, 0, v12
	v_cndmask_b32_e64 v13, 1.0, |v13|, vcc
	v_frexp_mant_f32_e32 v14, v13
	v_cmp_gt_f32_e32 vcc, s24, v14
	v_cndmask_b32_e64 v15, 1.0, 2.0, vcc
	v_mul_f32_e32 v14, v14, v15
	v_add_f32_e32 v15, 1.0, v14
	v_rcp_f32_e32 v17, v15
	v_add_f32_e32 v16, -1.0, v14
	v_add_f32_e32 v18, -1.0, v15
	v_sub_f32_e32 v14, v14, v18
	v_mul_f32_e32 v18, v16, v17
	v_mul_f32_e32 v19, v15, v18
	v_fma_f32 v15, v18, v15, -v19
	v_fmac_f32_e32 v15, v18, v14
	v_add_f32_e32 v14, v19, v15
	v_sub_f32_e32 v19, v14, v19
	v_sub_f32_e32 v15, v19, v15
	;; [unrolled: 1-line block ×5, first 2 shown]
	v_add_f32_e32 v14, v15, v14
	v_add_f32_e32 v14, v19, v14
	v_mul_f32_e32 v14, v17, v14
	v_add_f32_e32 v15, v18, v14
	v_sub_f32_e32 v17, v15, v18
	v_mul_f32_e32 v18, v15, v15
	v_sub_f32_e32 v14, v14, v17
	v_fma_f32 v17, v15, v15, -v18
	v_add_f32_e32 v19, v14, v14
	v_fmac_f32_e32 v17, v15, v19
	v_add_f32_e32 v19, v18, v17
	v_mov_b32_e32 v16, 0x3e91f4c4
	v_sub_f32_e32 v18, v19, v18
	v_sub_f32_e32 v17, v17, v18
	v_mov_b32_e32 v18, 0x3ecccdef
	v_fmac_f32_e32 v16, 0x3e76c4e1, v19
	v_fma_f32 v18, v19, v16, v18
	v_mul_f32_e32 v20, v15, v19
	v_fma_f32 v16, v19, v15, -v20
	v_mul_f32_e32 v21, v19, v18
	v_fmac_f32_e32 v16, v19, v14
	v_fma_f32 v19, v19, v18, -v21
	v_fmac_f32_e32 v19, v17, v18
	v_fmac_f32_e32 v16, v17, v15
	v_add_f32_e32 v17, v21, v19
	v_sub_f32_e32 v18, v17, v21
	v_add_f32_e32 v21, 0x3f2aaaaa, v17
	v_sub_f32_e32 v18, v19, v18
	;; [unrolled: 2-line block ×3, first 2 shown]
	v_add_f32_e32 v18, 0x31739010, v18
	v_add_f32_e32 v17, v18, v17
	;; [unrolled: 1-line block ×3, first 2 shown]
	v_sub_f32_e32 v18, v21, v19
	v_add_f32_e32 v22, v20, v16
	v_add_f32_e32 v21, v17, v18
	v_mul_f32_e32 v17, v22, v19
	v_fma_f32 v18, v22, v19, -v17
	v_sub_f32_e32 v20, v22, v20
	v_fmac_f32_e32 v18, v22, v21
	v_sub_f32_e32 v16, v16, v20
	v_fmac_f32_e32 v18, v16, v19
	v_cvt_f64_f32_e32 v[19:20], v13
	v_ldexp_f32 v15, v15, 1
	v_ldexp_f32 v14, v14, 1
	v_cmp_neq_f32_e64 s[18:19], v12, |v12|
	v_frexp_exp_i32_f64_e32 v16, v[19:20]
	v_cmp_gt_f32_e64 s[2:3], 1.0, v13
	v_cmp_eq_f32_e64 s[8:9], 0, v13
	s_xor_b64 s[2:3], s[18:19], s[2:3]
	v_cmp_eq_f32_e64 s[4:5], s27, v13
	v_subbrev_co_u32_e32 v16, vcc, 0, v16, vcc
	v_cvt_f32_i32_e32 v16, v16
	v_add_co_u32_e32 v9, vcc, s16, v9
	v_addc_co_u32_e32 v10, vcc, 0, v10, vcc
	v_mul_f32_e32 v19, 0x3f317218, v16
	v_fma_f32 v20, v16, s25, -v19
	v_fmac_f32_e32 v20, 0xb102e308, v16
	v_add_f32_e32 v16, v19, v20
	v_sub_f32_e32 v19, v16, v19
	v_sub_f32_e32 v19, v20, v19
	v_add_f32_e32 v20, v17, v18
	v_sub_f32_e32 v17, v20, v17
	v_sub_f32_e32 v17, v18, v17
	;; [unrolled: 3-line block ×3, first 2 shown]
	v_add_f32_e32 v14, v14, v17
	v_add_f32_e32 v14, v14, v15
	;; [unrolled: 1-line block ×3, first 2 shown]
	v_sub_f32_e32 v17, v15, v18
	v_add_f32_e32 v18, v16, v15
	v_sub_f32_e32 v14, v14, v17
	v_sub_f32_e32 v17, v18, v16
	;; [unrolled: 1-line block ×5, first 2 shown]
	v_add_f32_e32 v17, v19, v14
	v_add_f32_e32 v15, v15, v16
	v_sub_f32_e32 v16, v17, v19
	v_sub_f32_e32 v14, v14, v16
	;; [unrolled: 1-line block ×4, first 2 shown]
	v_add_f32_e32 v15, v17, v15
	v_add_f32_e32 v14, v14, v16
	;; [unrolled: 1-line block ×3, first 2 shown]
	v_sub_f32_e32 v18, v16, v18
	v_sub_f32_e32 v15, v15, v18
	v_add_f32_e32 v14, v14, v15
	v_add_f32_e32 v15, v16, v14
	v_sub_f32_e32 v16, v15, v16
	v_mul_f32_e32 v18, v12, v15
	v_sub_f32_e32 v14, v14, v16
	v_fma_f32 v15, v12, v15, -v18
	v_cmp_gt_f32_e32 vcc, 0, v12
	v_fmac_f32_e32 v15, v12, v14
	v_cndmask_b32_e64 v17, v8, 0, s[2:3]
	s_xor_b64 s[2:3], vcc, s[8:9]
	v_add_f32_e32 v14, v18, v15
	v_cmp_class_f32_e64 vcc, v18, s26
	v_sub_f32_e32 v16, v14, v18
	v_cndmask_b32_e32 v14, v14, v18, vcc
	v_mov_b32_e32 v19, 0x37000000
	v_cmp_eq_f32_e32 vcc, s28, v14
	v_sub_f32_e32 v15, v15, v16
	v_cndmask_b32_e32 v16, 0, v19, vcc
	v_cmp_neq_f32_e64 vcc, |v14|, s27
	v_cndmask_b32_e32 v15, 0, v15, vcc
	v_sub_f32_e32 v14, v14, v16
	v_add_f32_e32 v15, v16, v15
	v_mul_f32_e32 v16, 0x3fb8aa3b, v14
	v_fma_f32 v18, v14, s29, -v16
	v_rndne_f32_e32 v19, v16
	v_fmac_f32_e32 v18, 0x32a5705f, v14
	v_sub_f32_e32 v16, v16, v19
	v_add_f32_e32 v16, v16, v18
	v_cvt_i32_f32_e32 v19, v19
	v_exp_f32_e32 v16, v16
	v_cmp_neq_f32_e32 vcc, 1.0, v13
	v_cndmask_b32_e32 v17, 1.0, v17, vcc
	v_cmp_ngt_f32_e32 vcc, s30, v14
	v_ldexp_f32 v16, v16, v19
	v_cndmask_b32_e32 v16, 0, v16, vcc
	v_cmp_nlt_f32_e32 vcc, s28, v14
	v_cndmask_b32_e32 v14, v8, v16, vcc
	v_fma_f32 v15, v14, v15, v14
	v_cmp_class_f32_e64 vcc, v14, s26
	v_cndmask_b32_e64 v18, v8, 0, s[2:3]
	v_cndmask_b32_e32 v14, v15, v14, vcc
	v_cmp_class_f32_e64 s[2:3], v12, s26
	v_cndmask_b32_e64 v14, |v14|, v17, s[2:3]
	s_or_b64 vcc, s[8:9], s[4:5]
	v_cndmask_b32_e32 v14, v14, v18, vcc
	v_cmp_o_f32_e32 vcc, v13, v12
	v_cndmask_b32_e32 v12, v11, v14, vcc
	s_or_b64 s[20:21], s[0:1], s[20:21]
	v_add_f32_e32 v1, v1, v12
	s_andn2_b64 exec, exec, s[20:21]
	s_cbranch_execnz .LBB15_2
; %bb.3:
	s_or_b64 exec, exec, s[20:21]
.LBB15_4:
	s_or_b64 exec, exec, s[10:11]
	v_mbcnt_lo_u32_b32 v2, -1, 0
	v_mbcnt_hi_u32_b32 v7, -1, v2
	v_mov_b32_e32 v2, 0x80
	v_lshl_or_b32 v2, v7, 2, v2
	ds_bpermute_b32 v3, v2, v1
	v_and_b32_e32 v9, 63, v7
	v_cmp_gt_u32_e32 vcc, 48, v9
	v_cndmask_b32_e64 v4, 0, 16, vcc
	v_cmp_gt_u32_e32 vcc, 56, v9
	s_waitcnt lgkmcnt(0)
	v_add_f32_e32 v1, v1, v3
	v_add_lshl_u32 v3, v4, v7, 2
	ds_bpermute_b32 v5, v3, v1
	v_cndmask_b32_e64 v4, 0, 8, vcc
	v_add_lshl_u32 v4, v4, v7, 2
	v_cmp_gt_u32_e32 vcc, 60, v9
	s_waitcnt lgkmcnt(0)
	v_add_f32_e32 v1, v1, v5
	ds_bpermute_b32 v6, v4, v1
	v_cndmask_b32_e64 v5, 0, 4, vcc
	v_add_lshl_u32 v5, v5, v7, 2
	v_cmp_gt_u32_e32 vcc, 62, v9
	s_waitcnt lgkmcnt(0)
	s_barrier
	v_add_f32_e32 v1, v1, v6
	ds_bpermute_b32 v8, v5, v1
	v_cndmask_b32_e64 v6, 0, 2, vcc
	v_add_lshl_u32 v6, v6, v7, 2
	v_cmp_ne_u32_e32 vcc, 63, v9
	v_addc_co_u32_e32 v7, vcc, 0, v7, vcc
	s_waitcnt lgkmcnt(0)
	v_add_f32_e32 v1, v1, v8
	ds_bpermute_b32 v10, v6, v1
	v_lshlrev_b32_e32 v7, 2, v7
	v_and_b32_e32 v8, 63, v0
	v_cmp_eq_u32_e32 vcc, 0, v8
	s_waitcnt lgkmcnt(0)
	v_add_f32_e32 v1, v1, v10
	ds_bpermute_b32 v9, v7, v1
	s_and_saveexec_b64 s[0:1], vcc
	s_cbranch_execz .LBB15_6
; %bb.5:
	s_waitcnt lgkmcnt(0)
	v_add_f32_e32 v1, v1, v9
	v_lshrrev_b32_e32 v9, 4, v0
	ds_write_b32 v9, v1
.LBB15_6:
	s_or_b64 exec, exec, s[0:1]
	s_and_b32 s0, 0xffff, s23
	s_lshr_b32 s0, s0, 6
	v_cmp_gt_u32_e32 vcc, s0, v0
	v_mov_b32_e32 v1, 0
	s_waitcnt lgkmcnt(0)
	s_barrier
	s_and_saveexec_b64 s[0:1], vcc
	s_cbranch_execnz .LBB15_10
; %bb.7:
	s_or_b64 exec, exec, s[0:1]
	v_cmp_gt_u32_e32 vcc, 64, v0
	s_and_saveexec_b64 s[0:1], vcc
	s_cbranch_execnz .LBB15_11
.LBB15_8:
	s_or_b64 exec, exec, s[0:1]
	v_cmp_eq_u32_e32 vcc, 0, v0
	s_and_saveexec_b64 s[0:1], vcc
	s_cbranch_execnz .LBB15_12
.LBB15_9:
	s_endpgm
.LBB15_10:
	v_lshlrev_b32_e32 v1, 2, v8
	ds_read_b32 v1, v1
	s_or_b64 exec, exec, s[0:1]
	v_cmp_gt_u32_e32 vcc, 64, v0
	s_and_saveexec_b64 s[0:1], vcc
	s_cbranch_execz .LBB15_8
.LBB15_11:
	s_waitcnt lgkmcnt(0)
	ds_bpermute_b32 v2, v2, v1
	s_waitcnt lgkmcnt(0)
	v_add_f32_e32 v1, v1, v2
	ds_bpermute_b32 v2, v3, v1
	s_waitcnt lgkmcnt(0)
	v_add_f32_e32 v1, v1, v2
	;; [unrolled: 3-line block ×6, first 2 shown]
	s_or_b64 exec, exec, s[0:1]
	v_cmp_eq_u32_e32 vcc, 0, v0
	s_and_saveexec_b64 s[0:1], vcc
	s_cbranch_execz .LBB15_9
.LBB15_12:
	v_div_scale_f32 v0, s[0:1], s22, s22, 1.0
	v_div_scale_f32 v2, vcc, 1.0, s22, 1.0
	s_mov_b32 s0, 0x3f2aaaab
	s_movk_i32 s8, 0x204
	s_mov_b32 s1, 0x42b17218
	s_mov_b32 s2, 0x3fb8aa3b
	s_brev_b32 s9, -2
	v_rcp_f32_e32 v3, v0
	v_fma_f32 v4, -v0, v3, 1.0
	v_fmac_f32_e32 v3, v4, v3
	v_mul_f32_e32 v4, v2, v3
	v_fma_f32 v5, -v0, v4, v2
	v_fmac_f32_e32 v4, v5, v3
	v_fma_f32 v0, -v0, v4, v2
	v_div_fmas_f32 v0, v0, v3, v4
	s_waitcnt lgkmcnt(0)
	v_cmp_neq_f32_e32 vcc, 1.0, v1
	v_mov_b32_e32 v4, 0x3e91f4c4
	v_mov_b32_e32 v5, 0x3ecccdef
	v_div_fixup_f32 v0, v0, s22, 1.0
	v_cndmask_b32_e32 v0, 1.0, v0, vcc
	v_cmp_neq_f32_e32 vcc, 0, v0
	v_cndmask_b32_e32 v1, 1.0, v1, vcc
	v_frexp_mant_f32_e64 v6, |v1|
	v_cmp_gt_f32_e32 vcc, s0, v6
	v_cndmask_b32_e64 v7, 1.0, 2.0, vcc
	v_mul_f32_e32 v6, v6, v7
	v_add_f32_e32 v8, 1.0, v6
	v_cvt_f64_f32_e64 v[2:3], |v1|
	v_rcp_f32_e32 v9, v8
	v_add_f32_e32 v7, -1.0, v6
	v_add_f32_e32 v10, -1.0, v8
	v_frexp_exp_i32_f64_e32 v2, v[2:3]
	v_sub_f32_e32 v3, v6, v10
	v_mul_f32_e32 v6, v7, v9
	v_mul_f32_e32 v10, v8, v6
	v_fma_f32 v8, v6, v8, -v10
	v_fmac_f32_e32 v8, v6, v3
	v_add_f32_e32 v3, v10, v8
	v_sub_f32_e32 v11, v7, v3
	v_sub_f32_e32 v10, v3, v10
	;; [unrolled: 1-line block ×5, first 2 shown]
	v_add_f32_e32 v3, v8, v3
	v_add_f32_e32 v3, v11, v3
	v_mul_f32_e32 v3, v9, v3
	v_add_f32_e32 v7, v6, v3
	v_sub_f32_e32 v6, v7, v6
	v_mul_f32_e32 v8, v7, v7
	v_sub_f32_e32 v3, v3, v6
	v_fma_f32 v6, v7, v7, -v8
	v_add_f32_e32 v9, v3, v3
	v_fmac_f32_e32 v6, v7, v9
	v_add_f32_e32 v9, v8, v6
	v_fmac_f32_e32 v4, 0x3e76c4e1, v9
	v_sub_f32_e32 v8, v9, v8
	v_mul_f32_e32 v10, v7, v9
	v_fmac_f32_e32 v5, v9, v4
	v_sub_f32_e32 v4, v6, v8
	v_fma_f32 v6, v9, v7, -v10
	v_fmac_f32_e32 v6, v9, v3
	v_mul_f32_e32 v8, v9, v5
	v_fmac_f32_e32 v6, v4, v7
	v_fma_f32 v9, v9, v5, -v8
	v_add_f32_e32 v11, v10, v6
	v_fmac_f32_e32 v9, v4, v5
	v_sub_f32_e32 v4, v11, v10
	v_add_f32_e32 v5, v8, v9
	v_sub_f32_e32 v4, v6, v4
	v_add_f32_e32 v6, 0x3f2aaaaa, v5
	v_sub_f32_e32 v8, v5, v8
	v_sub_f32_e32 v8, v9, v8
	v_add_f32_e32 v9, 0xbf2aaaaa, v6
	v_add_f32_e32 v8, 0x31739010, v8
	v_sub_f32_e32 v5, v5, v9
	v_subbrev_co_u32_e32 v2, vcc, 0, v2, vcc
	v_add_f32_e32 v5, v8, v5
	v_cvt_f32_i32_e32 v2, v2
	v_add_f32_e32 v8, v6, v5
	v_sub_f32_e32 v6, v6, v8
	v_mul_f32_e32 v9, v11, v8
	v_add_f32_e32 v5, v5, v6
	v_fma_f32 v6, v11, v8, -v9
	v_fmac_f32_e32 v6, v11, v5
	v_fmac_f32_e32 v6, v4, v8
	s_mov_b32 s0, 0x3f317218
	v_mul_f32_e32 v4, 0x3f317218, v2
	v_fma_f32 v5, v2, s0, -v4
	v_fmac_f32_e32 v5, 0xb102e308, v2
	v_ldexp_f32 v2, v3, 1
	v_ldexp_f32 v3, v7, 1
	v_add_f32_e32 v7, v4, v5
	v_sub_f32_e32 v4, v7, v4
	v_sub_f32_e32 v4, v5, v4
	v_add_f32_e32 v5, v9, v6
	v_sub_f32_e32 v8, v5, v9
	v_sub_f32_e32 v6, v6, v8
	;; [unrolled: 3-line block ×3, first 2 shown]
	v_add_f32_e32 v2, v2, v6
	v_add_f32_e32 v2, v2, v3
	;; [unrolled: 1-line block ×3, first 2 shown]
	v_sub_f32_e32 v5, v3, v8
	v_sub_f32_e32 v2, v2, v5
	v_add_f32_e32 v5, v7, v3
	v_sub_f32_e32 v6, v5, v7
	v_sub_f32_e32 v8, v5, v6
	;; [unrolled: 1-line block ×4, first 2 shown]
	v_add_f32_e32 v6, v4, v2
	v_add_f32_e32 v3, v3, v7
	v_sub_f32_e32 v7, v6, v4
	v_sub_f32_e32 v8, v6, v7
	;; [unrolled: 1-line block ×4, first 2 shown]
	v_add_f32_e32 v3, v6, v3
	v_add_f32_e32 v2, v2, v4
	;; [unrolled: 1-line block ×3, first 2 shown]
	v_sub_f32_e32 v5, v4, v5
	v_sub_f32_e32 v3, v3, v5
	v_add_f32_e32 v2, v2, v3
	v_add_f32_e32 v3, v4, v2
	v_sub_f32_e32 v4, v3, v4
	v_sub_f32_e32 v2, v2, v4
	v_mul_f32_e32 v4, v0, v3
	v_fma_f32 v3, v0, v3, -v4
	v_fmac_f32_e32 v3, v0, v2
	v_add_f32_e32 v2, v4, v3
	v_cmp_class_f32_e64 vcc, v4, s8
	v_sub_f32_e32 v5, v2, v4
	v_cndmask_b32_e32 v2, v2, v4, vcc
	v_mov_b32_e32 v4, 0x37000000
	v_cmp_eq_f32_e32 vcc, s1, v2
	v_cndmask_b32_e32 v4, 0, v4, vcc
	v_sub_f32_e32 v3, v3, v5
	v_sub_f32_e32 v5, v2, v4
	v_mul_f32_e32 v6, 0x3fb8aa3b, v5
	v_fma_f32 v7, v5, s2, -v6
	v_rndne_f32_e32 v8, v6
	v_fmac_f32_e32 v7, 0x32a5705f, v5
	v_sub_f32_e32 v6, v6, v8
	v_add_f32_e32 v6, v6, v7
	v_exp_f32_e32 v6, v6
	v_cvt_i32_f32_e32 v7, v8
	s_mov_b32 s0, 0x7f800000
	v_cmp_neq_f32_e64 vcc, |v2|, s0
	s_mov_b32 s0, 0xc2ce8ed0
	v_cndmask_b32_e32 v2, 0, v3, vcc
	v_ldexp_f32 v3, v6, v7
	v_cmp_ngt_f32_e32 vcc, s0, v5
	v_add_f32_e32 v2, v4, v2
	v_cndmask_b32_e32 v3, 0, v3, vcc
	v_mov_b32_e32 v4, 0x7f800000
	v_cmp_nlt_f32_e32 vcc, s1, v5
	v_cndmask_b32_e32 v3, v4, v3, vcc
	v_fma_f32 v2, v3, v2, v3
	v_cmp_class_f32_e64 vcc, v3, s8
	v_cndmask_b32_e32 v2, v2, v3, vcc
	v_trunc_f32_e32 v3, v0
	v_cmp_eq_f32_e32 vcc, v3, v0
	v_mul_f32_e32 v3, 0.5, v0
	v_trunc_f32_e32 v6, v3
	v_cmp_neq_f32_e64 s[0:1], v6, v3
	s_and_b64 s[0:1], vcc, s[0:1]
	v_cndmask_b32_e64 v3, 1.0, v1, s[0:1]
	v_mov_b32_e32 v5, 0x7fc00000
	v_bfi_b32 v2, s9, v2, v3
	v_cmp_neq_f32_e64 s[2:3], v0, |v0|
	v_cmp_lt_f32_e64 s[4:5], |v1|, 1.0
	v_cndmask_b32_e32 v3, v5, v2, vcc
	v_cmp_gt_f32_e32 vcc, 0, v1
	s_xor_b64 s[2:3], s[2:3], s[4:5]
	v_cndmask_b32_e32 v2, v2, v3, vcc
	v_cndmask_b32_e64 v3, v4, 0, s[2:3]
	v_cmp_neq_f32_e64 vcc, |v1|, 1.0
	v_cndmask_b32_e32 v3, 1.0, v3, vcc
	v_cmp_class_f32_e64 vcc, v0, s8
	v_cndmask_b32_e32 v2, v2, v3, vcc
	v_cmp_eq_f32_e32 vcc, 0, v1
	v_cmp_gt_f32_e64 s[2:3], 0, v0
	s_xor_b64 s[2:3], s[2:3], vcc
	v_cmp_class_f32_e64 s[4:5], v1, s8
	v_cndmask_b32_e64 v3, v4, 0, s[2:3]
	v_cndmask_b32_e64 v4, 0, v1, s[0:1]
	v_bfi_b32 v3, s9, v3, v4
	s_or_b64 vcc, vcc, s[4:5]
	s_lshl_b64 s[0:1], s[6:7], 2
	v_cndmask_b32_e32 v2, v2, v3, vcc
	v_cmp_o_f32_e32 vcc, v1, v0
	s_add_u32 s0, s12, s0
	v_cndmask_b32_e32 v0, v5, v2, vcc
	s_addc_u32 s1, s13, s1
	v_mov_b32_e32 v1, 0
	global_store_dword v1, v0, s[0:1]
	s_endpgm
	.section	.rodata,"a",@progbits
	.p2align	6, 0x0
	.amdhsa_kernel _ZN2at6native12_GLOBAL__N_122pdist_kernel_cuda_implIfNS1_5distsIfE1pEEEvPT_PKS6_llS6_dd
		.amdhsa_group_segment_fixed_size 1024
		.amdhsa_private_segment_fixed_size 0
		.amdhsa_kernarg_size 312
		.amdhsa_user_sgpr_count 6
		.amdhsa_user_sgpr_private_segment_buffer 1
		.amdhsa_user_sgpr_dispatch_ptr 0
		.amdhsa_user_sgpr_queue_ptr 0
		.amdhsa_user_sgpr_kernarg_segment_ptr 1
		.amdhsa_user_sgpr_dispatch_id 0
		.amdhsa_user_sgpr_flat_scratch_init 0
		.amdhsa_user_sgpr_private_segment_size 0
		.amdhsa_uses_dynamic_stack 0
		.amdhsa_system_sgpr_private_segment_wavefront_offset 0
		.amdhsa_system_sgpr_workgroup_id_x 1
		.amdhsa_system_sgpr_workgroup_id_y 0
		.amdhsa_system_sgpr_workgroup_id_z 0
		.amdhsa_system_sgpr_workgroup_info 0
		.amdhsa_system_vgpr_workitem_id 0
		.amdhsa_next_free_vgpr 23
		.amdhsa_next_free_sgpr 31
		.amdhsa_reserve_vcc 1
		.amdhsa_reserve_flat_scratch 0
		.amdhsa_float_round_mode_32 0
		.amdhsa_float_round_mode_16_64 0
		.amdhsa_float_denorm_mode_32 3
		.amdhsa_float_denorm_mode_16_64 3
		.amdhsa_dx10_clamp 1
		.amdhsa_ieee_mode 1
		.amdhsa_fp16_overflow 0
		.amdhsa_exception_fp_ieee_invalid_op 0
		.amdhsa_exception_fp_denorm_src 0
		.amdhsa_exception_fp_ieee_div_zero 0
		.amdhsa_exception_fp_ieee_overflow 0
		.amdhsa_exception_fp_ieee_underflow 0
		.amdhsa_exception_fp_ieee_inexact 0
		.amdhsa_exception_int_div_zero 0
	.end_amdhsa_kernel
	.section	.text._ZN2at6native12_GLOBAL__N_122pdist_kernel_cuda_implIfNS1_5distsIfE1pEEEvPT_PKS6_llS6_dd,"axG",@progbits,_ZN2at6native12_GLOBAL__N_122pdist_kernel_cuda_implIfNS1_5distsIfE1pEEEvPT_PKS6_llS6_dd,comdat
.Lfunc_end15:
	.size	_ZN2at6native12_GLOBAL__N_122pdist_kernel_cuda_implIfNS1_5distsIfE1pEEEvPT_PKS6_llS6_dd, .Lfunc_end15-_ZN2at6native12_GLOBAL__N_122pdist_kernel_cuda_implIfNS1_5distsIfE1pEEEvPT_PKS6_llS6_dd
                                        ; -- End function
	.set _ZN2at6native12_GLOBAL__N_122pdist_kernel_cuda_implIfNS1_5distsIfE1pEEEvPT_PKS6_llS6_dd.num_vgpr, 23
	.set _ZN2at6native12_GLOBAL__N_122pdist_kernel_cuda_implIfNS1_5distsIfE1pEEEvPT_PKS6_llS6_dd.num_agpr, 0
	.set _ZN2at6native12_GLOBAL__N_122pdist_kernel_cuda_implIfNS1_5distsIfE1pEEEvPT_PKS6_llS6_dd.numbered_sgpr, 31
	.set _ZN2at6native12_GLOBAL__N_122pdist_kernel_cuda_implIfNS1_5distsIfE1pEEEvPT_PKS6_llS6_dd.num_named_barrier, 0
	.set _ZN2at6native12_GLOBAL__N_122pdist_kernel_cuda_implIfNS1_5distsIfE1pEEEvPT_PKS6_llS6_dd.private_seg_size, 0
	.set _ZN2at6native12_GLOBAL__N_122pdist_kernel_cuda_implIfNS1_5distsIfE1pEEEvPT_PKS6_llS6_dd.uses_vcc, 1
	.set _ZN2at6native12_GLOBAL__N_122pdist_kernel_cuda_implIfNS1_5distsIfE1pEEEvPT_PKS6_llS6_dd.uses_flat_scratch, 0
	.set _ZN2at6native12_GLOBAL__N_122pdist_kernel_cuda_implIfNS1_5distsIfE1pEEEvPT_PKS6_llS6_dd.has_dyn_sized_stack, 0
	.set _ZN2at6native12_GLOBAL__N_122pdist_kernel_cuda_implIfNS1_5distsIfE1pEEEvPT_PKS6_llS6_dd.has_recursion, 0
	.set _ZN2at6native12_GLOBAL__N_122pdist_kernel_cuda_implIfNS1_5distsIfE1pEEEvPT_PKS6_llS6_dd.has_indirect_call, 0
	.section	.AMDGPU.csdata,"",@progbits
; Kernel info:
; codeLenInByte = 2996
; TotalNumSgprs: 35
; NumVgprs: 23
; ScratchSize: 0
; MemoryBound: 0
; FloatMode: 240
; IeeeMode: 1
; LDSByteSize: 1024 bytes/workgroup (compile time only)
; SGPRBlocks: 4
; VGPRBlocks: 5
; NumSGPRsForWavesPerEU: 35
; NumVGPRsForWavesPerEU: 23
; Occupancy: 10
; WaveLimiterHint : 0
; COMPUTE_PGM_RSRC2:SCRATCH_EN: 0
; COMPUTE_PGM_RSRC2:USER_SGPR: 6
; COMPUTE_PGM_RSRC2:TRAP_HANDLER: 0
; COMPUTE_PGM_RSRC2:TGID_X_EN: 1
; COMPUTE_PGM_RSRC2:TGID_Y_EN: 0
; COMPUTE_PGM_RSRC2:TGID_Z_EN: 0
; COMPUTE_PGM_RSRC2:TIDIG_COMP_CNT: 0
	.section	.text._ZN2at6native12_GLOBAL__N_122pdist_kernel_cuda_implIfNS1_5distsIfE4zeroEEEvPT_PKS6_llS6_dd,"axG",@progbits,_ZN2at6native12_GLOBAL__N_122pdist_kernel_cuda_implIfNS1_5distsIfE4zeroEEEvPT_PKS6_llS6_dd,comdat
	.globl	_ZN2at6native12_GLOBAL__N_122pdist_kernel_cuda_implIfNS1_5distsIfE4zeroEEEvPT_PKS6_llS6_dd ; -- Begin function _ZN2at6native12_GLOBAL__N_122pdist_kernel_cuda_implIfNS1_5distsIfE4zeroEEEvPT_PKS6_llS6_dd
	.p2align	8
	.type	_ZN2at6native12_GLOBAL__N_122pdist_kernel_cuda_implIfNS1_5distsIfE4zeroEEEvPT_PKS6_llS6_dd,@function
_ZN2at6native12_GLOBAL__N_122pdist_kernel_cuda_implIfNS1_5distsIfE4zeroEEEvPT_PKS6_llS6_dd: ; @_ZN2at6native12_GLOBAL__N_122pdist_kernel_cuda_implIfNS1_5distsIfE4zeroEEEvPT_PKS6_llS6_dd
; %bb.0:
	s_load_dwordx8 s[8:15], s[4:5], 0x0
	s_load_dword s16, s[4:5], 0x44
	v_mov_b32_e32 v1, 0
	s_mov_b32 s7, 0
	s_waitcnt lgkmcnt(0)
	v_cmp_gt_i64_e32 vcc, s[14:15], v[0:1]
	s_and_saveexec_b64 s[2:3], vcc
	s_cbranch_execz .LBB16_8
; %bb.1:
	s_lshl_b64 s[0:1], s[6:7], 1
	v_cvt_f64_u32_e32 v[1:2], s1
	v_cvt_f64_u32_e32 v[3:4], s0
	s_load_dwordx4 s[20:23], s[4:5], 0x28
	s_mov_b32 s0, 0
	v_ldexp_f64 v[1:2], v[1:2], 32
	s_brev_b32 s1, 8
	s_mov_b64 s[4:5], 0
	v_add_f64 v[1:2], v[1:2], v[3:4]
	s_waitcnt lgkmcnt(0)
	v_add_f64 v[1:2], s[22:23], -v[1:2]
	v_cmp_gt_f64_e32 vcc, s[0:1], v[1:2]
	s_and_b64 s[0:1], vcc, exec
	s_cselect_b32 s0, 0x100, 0
	v_ldexp_f64 v[1:2], v[1:2], s0
	s_cselect_b32 s0, 0xffffff80, 0
	v_rsq_f64_e32 v[3:4], v[1:2]
	v_mul_f64 v[5:6], v[1:2], v[3:4]
	v_mul_f64 v[3:4], v[3:4], 0.5
	v_fma_f64 v[7:8], -v[3:4], v[5:6], 0.5
	v_fma_f64 v[5:6], v[5:6], v[7:8], v[5:6]
	v_fma_f64 v[3:4], v[3:4], v[7:8], v[3:4]
	v_fma_f64 v[7:8], -v[5:6], v[5:6], v[1:2]
	v_fma_f64 v[5:6], v[7:8], v[3:4], v[5:6]
	v_fma_f64 v[7:8], -v[5:6], v[5:6], v[1:2]
	v_fma_f64 v[3:4], v[7:8], v[3:4], v[5:6]
	v_mov_b32_e32 v5, 0x260
	v_cmp_class_f64_e32 vcc, v[1:2], v5
	v_lshlrev_b32_e32 v6, 2, v0
	v_mov_b32_e32 v7, s11
	v_mov_b32_e32 v5, s11
	;; [unrolled: 1-line block ×3, first 2 shown]
	v_ldexp_f64 v[3:4], v[3:4], s0
	s_movk_i32 s0, 0xffe0
	v_cndmask_b32_e32 v2, v4, v2, vcc
	v_cndmask_b32_e32 v1, v3, v1, vcc
	v_add_f64 v[1:2], s[20:21], -v[1:2]
	v_add_co_u32_e32 v9, vcc, s10, v6
	v_addc_co_u32_e32 v10, vcc, 0, v7, vcc
	v_trunc_f64_e32 v[1:2], v[1:2]
	v_ldexp_f64 v[3:4], v[1:2], s0
	s_mov_b32 s0, 0
	s_mov_b32 s1, 0xc1f00000
	v_floor_f64_e32 v[3:4], v[3:4]
	v_fma_f64 v[1:2], v[3:4], s[0:1], v[1:2]
	v_cvt_i32_f64_e32 v3, v[3:4]
	s_lshl_b64 s[0:1], s[14:15], 2
	v_mov_b32_e32 v7, s1
	v_readfirstlane_b32 s1, v3
	s_mul_i32 s11, s12, s1
	v_cvt_u32_f64_e32 v1, v[1:2]
	v_mul_lo_u32 v2, s14, v3
	v_mul_hi_u32 v4, s14, v1
	v_readfirstlane_b32 s17, v1
	v_mul_lo_u32 v3, s15, v1
	v_mul_lo_u32 v1, s14, v1
	s_add_u32 s18, s17, 1
	s_addc_u32 s20, s1, 0
	s_mul_hi_u32 s19, s12, s17
	s_mul_hi_u32 s21, s18, s17
	s_mul_i32 s1, s18, s1
	s_mul_i32 s22, s18, s17
	s_add_u32 s18, s18, s6
	v_add_u32_e32 v2, v4, v2
	s_mul_i32 s13, s13, s17
	s_mul_i32 s12, s12, s17
	;; [unrolled: 1-line block ×3, first 2 shown]
	s_addc_u32 s20, s20, 0
	s_add_i32 s11, s19, s11
	v_add_u32_e32 v2, v2, v3
	s_add_i32 s11, s11, s13
	v_lshlrev_b64 v[2:3], 2, v[1:2]
	s_sub_u32 s12, s18, s12
	s_subb_u32 s11, s20, s11
	s_add_i32 s1, s21, s1
	v_add_co_u32_e32 v1, vcc, s10, v2
	v_addc_co_u32_e32 v11, vcc, v5, v3, vcc
	s_add_i32 s1, s1, s17
	v_add_co_u32_e32 v4, vcc, s0, v1
	s_lshr_b32 s0, s1, 31
	s_add_u32 s0, s22, s0
	s_addc_u32 s1, s1, 0
	s_ashr_i64 s[0:1], s[0:1], 1
	s_add_u32 s0, s12, s0
	s_addc_u32 s1, s11, s1
	s_mul_hi_u32 s10, s14, s0
	s_mul_i32 s1, s14, s1
	v_addc_co_u32_e32 v5, vcc, v11, v7, vcc
	s_mul_i32 s11, s15, s0
	s_add_i32 s1, s10, s1
	v_add_co_u32_e32 v6, vcc, v1, v6
	s_and_b32 s12, s16, 0xffff
	s_mul_i32 s0, s14, s0
	s_add_i32 s1, s1, s11
	v_addc_co_u32_e32 v7, vcc, 0, v11, vcc
	s_lshl_b32 s14, s12, 2
	s_lshl_b64 s[10:11], s[0:1], 2
	s_lshl_b32 s15, s12, 2
	s_branch .LBB16_4
.LBB16_2:                               ;   in Loop: Header=BB16_4 Depth=1
	s_or_b64 exec, exec, s[12:13]
	v_mov_b32_e32 v1, v8
.LBB16_3:                               ;   in Loop: Header=BB16_4 Depth=1
	s_or_b64 exec, exec, s[0:1]
	v_add_co_u32_e32 v6, vcc, s15, v6
	v_addc_co_u32_e32 v7, vcc, 0, v7, vcc
	v_cmp_ge_u64_e32 vcc, v[6:7], v[4:5]
	v_add_co_u32_e64 v9, s[0:1], s14, v9
	v_addc_co_u32_e64 v10, s[0:1], 0, v10, s[0:1]
	s_or_b64 s[4:5], vcc, s[4:5]
	v_mov_b32_e32 v8, v1
	s_andn2_b64 exec, exec, s[4:5]
	s_cbranch_execz .LBB16_7
.LBB16_4:                               ; =>This Inner Loop Header: Depth=1
	v_mov_b32_e32 v1, s11
	v_add_co_u32_e32 v11, vcc, s10, v9
	v_addc_co_u32_e32 v12, vcc, v10, v1, vcc
	v_add_co_u32_e32 v13, vcc, v9, v2
	v_addc_co_u32_e32 v14, vcc, v10, v3, vcc
	global_load_dword v1, v[13:14], off
	global_load_dword v15, v[11:12], off
	s_waitcnt vmcnt(0)
	v_sub_f32_e32 v11, v1, v15
	v_and_b32_e32 v1, 0x7fffffff, v11
	v_cmp_o_f32_e32 vcc, v11, v11
	s_and_saveexec_b64 s[0:1], vcc
	s_cbranch_execz .LBB16_3
; %bb.5:                                ;   in Loop: Header=BB16_4 Depth=1
	v_cmp_neq_f32_e32 vcc, 0, v11
	s_and_saveexec_b64 s[12:13], vcc
	s_cbranch_execz .LBB16_2
; %bb.6:                                ;   in Loop: Header=BB16_4 Depth=1
	v_add_f32_e32 v8, 1.0, v8
	s_branch .LBB16_2
.LBB16_7:
	s_or_b64 exec, exec, s[4:5]
.LBB16_8:
	s_or_b64 exec, exec, s[2:3]
	v_mbcnt_lo_u32_b32 v2, -1, 0
	v_mbcnt_hi_u32_b32 v6, -1, v2
	v_mov_b32_e32 v2, 0x80
	v_lshl_or_b32 v2, v6, 2, v2
	ds_bpermute_b32 v3, v2, v1
	v_and_b32_e32 v7, 63, v6
	v_cmp_gt_u32_e32 vcc, 48, v7
	v_cndmask_b32_e64 v4, 0, 16, vcc
	v_cmp_gt_u32_e32 vcc, 56, v7
	s_waitcnt lgkmcnt(0)
	v_add_f32_e32 v5, v1, v3
	v_add_lshl_u32 v1, v4, v6, 2
	ds_bpermute_b32 v4, v1, v5
	v_cndmask_b32_e64 v3, 0, 8, vcc
	v_add_lshl_u32 v3, v3, v6, 2
	v_cmp_gt_u32_e32 vcc, 60, v7
	s_waitcnt lgkmcnt(0)
	v_add_f32_e32 v5, v5, v4
	ds_bpermute_b32 v8, v3, v5
	v_cndmask_b32_e64 v4, 0, 4, vcc
	v_add_lshl_u32 v4, v4, v6, 2
	v_cmp_gt_u32_e32 vcc, 62, v7
	s_waitcnt lgkmcnt(0)
	s_barrier
	v_add_f32_e32 v8, v5, v8
	ds_bpermute_b32 v9, v4, v8
	v_cndmask_b32_e64 v5, 0, 2, vcc
	v_add_lshl_u32 v5, v5, v6, 2
	v_cmp_ne_u32_e32 vcc, 63, v7
	v_addc_co_u32_e32 v6, vcc, 0, v6, vcc
	s_waitcnt lgkmcnt(0)
	v_add_f32_e32 v9, v8, v9
	ds_bpermute_b32 v10, v5, v9
	v_lshlrev_b32_e32 v6, 2, v6
	v_and_b32_e32 v8, 63, v0
	v_cmp_eq_u32_e32 vcc, 0, v8
	s_waitcnt lgkmcnt(0)
	v_add_f32_e32 v7, v9, v10
	ds_bpermute_b32 v9, v6, v7
	s_and_saveexec_b64 s[0:1], vcc
	s_cbranch_execz .LBB16_10
; %bb.9:
	s_waitcnt lgkmcnt(0)
	v_add_f32_e32 v7, v7, v9
	v_lshrrev_b32_e32 v9, 4, v0
	ds_write_b32 v9, v7
.LBB16_10:
	s_or_b64 exec, exec, s[0:1]
	s_and_b32 s0, 0xffff, s16
	s_lshr_b32 s0, s0, 6
	v_cmp_gt_u32_e32 vcc, s0, v0
	v_mov_b32_e32 v7, 0
	s_waitcnt lgkmcnt(0)
	s_barrier
	s_and_saveexec_b64 s[0:1], vcc
	s_cbranch_execnz .LBB16_14
; %bb.11:
	s_or_b64 exec, exec, s[0:1]
	v_cmp_gt_u32_e32 vcc, 64, v0
	s_and_saveexec_b64 s[0:1], vcc
	s_cbranch_execnz .LBB16_15
.LBB16_12:
	s_or_b64 exec, exec, s[0:1]
	v_cmp_eq_u32_e32 vcc, 0, v0
	s_and_saveexec_b64 s[0:1], vcc
	s_cbranch_execnz .LBB16_16
.LBB16_13:
	s_endpgm
.LBB16_14:
	v_lshlrev_b32_e32 v7, 2, v8
	ds_read_b32 v7, v7
	s_or_b64 exec, exec, s[0:1]
	v_cmp_gt_u32_e32 vcc, 64, v0
	s_and_saveexec_b64 s[0:1], vcc
	s_cbranch_execz .LBB16_12
.LBB16_15:
	s_waitcnt lgkmcnt(0)
	ds_bpermute_b32 v2, v2, v7
	s_waitcnt lgkmcnt(0)
	v_add_f32_e32 v2, v7, v2
	ds_bpermute_b32 v1, v1, v2
	s_waitcnt lgkmcnt(0)
	v_add_f32_e32 v1, v2, v1
	;; [unrolled: 3-line block ×6, first 2 shown]
	s_or_b64 exec, exec, s[0:1]
	v_cmp_eq_u32_e32 vcc, 0, v0
	s_and_saveexec_b64 s[0:1], vcc
	s_cbranch_execz .LBB16_13
.LBB16_16:
	s_lshl_b64 s[0:1], s[6:7], 2
	s_add_u32 s0, s8, s0
	s_addc_u32 s1, s9, s1
	v_mov_b32_e32 v0, 0
	s_waitcnt lgkmcnt(0)
	global_store_dword v0, v7, s[0:1]
	s_endpgm
	.section	.rodata,"a",@progbits
	.p2align	6, 0x0
	.amdhsa_kernel _ZN2at6native12_GLOBAL__N_122pdist_kernel_cuda_implIfNS1_5distsIfE4zeroEEEvPT_PKS6_llS6_dd
		.amdhsa_group_segment_fixed_size 1024
		.amdhsa_private_segment_fixed_size 0
		.amdhsa_kernarg_size 312
		.amdhsa_user_sgpr_count 6
		.amdhsa_user_sgpr_private_segment_buffer 1
		.amdhsa_user_sgpr_dispatch_ptr 0
		.amdhsa_user_sgpr_queue_ptr 0
		.amdhsa_user_sgpr_kernarg_segment_ptr 1
		.amdhsa_user_sgpr_dispatch_id 0
		.amdhsa_user_sgpr_flat_scratch_init 0
		.amdhsa_user_sgpr_private_segment_size 0
		.amdhsa_uses_dynamic_stack 0
		.amdhsa_system_sgpr_private_segment_wavefront_offset 0
		.amdhsa_system_sgpr_workgroup_id_x 1
		.amdhsa_system_sgpr_workgroup_id_y 0
		.amdhsa_system_sgpr_workgroup_id_z 0
		.amdhsa_system_sgpr_workgroup_info 0
		.amdhsa_system_vgpr_workitem_id 0
		.amdhsa_next_free_vgpr 16
		.amdhsa_next_free_sgpr 24
		.amdhsa_reserve_vcc 1
		.amdhsa_reserve_flat_scratch 0
		.amdhsa_float_round_mode_32 0
		.amdhsa_float_round_mode_16_64 0
		.amdhsa_float_denorm_mode_32 3
		.amdhsa_float_denorm_mode_16_64 3
		.amdhsa_dx10_clamp 1
		.amdhsa_ieee_mode 1
		.amdhsa_fp16_overflow 0
		.amdhsa_exception_fp_ieee_invalid_op 0
		.amdhsa_exception_fp_denorm_src 0
		.amdhsa_exception_fp_ieee_div_zero 0
		.amdhsa_exception_fp_ieee_overflow 0
		.amdhsa_exception_fp_ieee_underflow 0
		.amdhsa_exception_fp_ieee_inexact 0
		.amdhsa_exception_int_div_zero 0
	.end_amdhsa_kernel
	.section	.text._ZN2at6native12_GLOBAL__N_122pdist_kernel_cuda_implIfNS1_5distsIfE4zeroEEEvPT_PKS6_llS6_dd,"axG",@progbits,_ZN2at6native12_GLOBAL__N_122pdist_kernel_cuda_implIfNS1_5distsIfE4zeroEEEvPT_PKS6_llS6_dd,comdat
.Lfunc_end16:
	.size	_ZN2at6native12_GLOBAL__N_122pdist_kernel_cuda_implIfNS1_5distsIfE4zeroEEEvPT_PKS6_llS6_dd, .Lfunc_end16-_ZN2at6native12_GLOBAL__N_122pdist_kernel_cuda_implIfNS1_5distsIfE4zeroEEEvPT_PKS6_llS6_dd
                                        ; -- End function
	.set _ZN2at6native12_GLOBAL__N_122pdist_kernel_cuda_implIfNS1_5distsIfE4zeroEEEvPT_PKS6_llS6_dd.num_vgpr, 16
	.set _ZN2at6native12_GLOBAL__N_122pdist_kernel_cuda_implIfNS1_5distsIfE4zeroEEEvPT_PKS6_llS6_dd.num_agpr, 0
	.set _ZN2at6native12_GLOBAL__N_122pdist_kernel_cuda_implIfNS1_5distsIfE4zeroEEEvPT_PKS6_llS6_dd.numbered_sgpr, 24
	.set _ZN2at6native12_GLOBAL__N_122pdist_kernel_cuda_implIfNS1_5distsIfE4zeroEEEvPT_PKS6_llS6_dd.num_named_barrier, 0
	.set _ZN2at6native12_GLOBAL__N_122pdist_kernel_cuda_implIfNS1_5distsIfE4zeroEEEvPT_PKS6_llS6_dd.private_seg_size, 0
	.set _ZN2at6native12_GLOBAL__N_122pdist_kernel_cuda_implIfNS1_5distsIfE4zeroEEEvPT_PKS6_llS6_dd.uses_vcc, 1
	.set _ZN2at6native12_GLOBAL__N_122pdist_kernel_cuda_implIfNS1_5distsIfE4zeroEEEvPT_PKS6_llS6_dd.uses_flat_scratch, 0
	.set _ZN2at6native12_GLOBAL__N_122pdist_kernel_cuda_implIfNS1_5distsIfE4zeroEEEvPT_PKS6_llS6_dd.has_dyn_sized_stack, 0
	.set _ZN2at6native12_GLOBAL__N_122pdist_kernel_cuda_implIfNS1_5distsIfE4zeroEEEvPT_PKS6_llS6_dd.has_recursion, 0
	.set _ZN2at6native12_GLOBAL__N_122pdist_kernel_cuda_implIfNS1_5distsIfE4zeroEEEvPT_PKS6_llS6_dd.has_indirect_call, 0
	.section	.AMDGPU.csdata,"",@progbits
; Kernel info:
; codeLenInByte = 1204
; TotalNumSgprs: 28
; NumVgprs: 16
; ScratchSize: 0
; MemoryBound: 0
; FloatMode: 240
; IeeeMode: 1
; LDSByteSize: 1024 bytes/workgroup (compile time only)
; SGPRBlocks: 3
; VGPRBlocks: 3
; NumSGPRsForWavesPerEU: 28
; NumVGPRsForWavesPerEU: 16
; Occupancy: 10
; WaveLimiterHint : 0
; COMPUTE_PGM_RSRC2:SCRATCH_EN: 0
; COMPUTE_PGM_RSRC2:USER_SGPR: 6
; COMPUTE_PGM_RSRC2:TRAP_HANDLER: 0
; COMPUTE_PGM_RSRC2:TGID_X_EN: 1
; COMPUTE_PGM_RSRC2:TGID_Y_EN: 0
; COMPUTE_PGM_RSRC2:TGID_Z_EN: 0
; COMPUTE_PGM_RSRC2:TIDIG_COMP_CNT: 0
	.section	.text._ZN2at6native12_GLOBAL__N_122pdist_kernel_cuda_implIfNS1_5distsIfE3oneEEEvPT_PKS6_llS6_dd,"axG",@progbits,_ZN2at6native12_GLOBAL__N_122pdist_kernel_cuda_implIfNS1_5distsIfE3oneEEEvPT_PKS6_llS6_dd,comdat
	.globl	_ZN2at6native12_GLOBAL__N_122pdist_kernel_cuda_implIfNS1_5distsIfE3oneEEEvPT_PKS6_llS6_dd ; -- Begin function _ZN2at6native12_GLOBAL__N_122pdist_kernel_cuda_implIfNS1_5distsIfE3oneEEEvPT_PKS6_llS6_dd
	.p2align	8
	.type	_ZN2at6native12_GLOBAL__N_122pdist_kernel_cuda_implIfNS1_5distsIfE3oneEEEvPT_PKS6_llS6_dd,@function
_ZN2at6native12_GLOBAL__N_122pdist_kernel_cuda_implIfNS1_5distsIfE3oneEEEvPT_PKS6_llS6_dd: ; @_ZN2at6native12_GLOBAL__N_122pdist_kernel_cuda_implIfNS1_5distsIfE3oneEEEvPT_PKS6_llS6_dd
; %bb.0:
	s_load_dwordx8 s[8:15], s[4:5], 0x0
	s_load_dword s16, s[4:5], 0x44
	v_mov_b32_e32 v1, 0
	s_mov_b32 s7, 0
	s_waitcnt lgkmcnt(0)
	v_cmp_gt_i64_e32 vcc, s[14:15], v[0:1]
	s_and_saveexec_b64 s[2:3], vcc
	s_cbranch_execz .LBB17_4
; %bb.1:
	s_lshl_b64 s[0:1], s[6:7], 1
	v_cvt_f64_u32_e32 v[1:2], s1
	v_cvt_f64_u32_e32 v[3:4], s0
	s_load_dwordx4 s[20:23], s[4:5], 0x28
	s_mov_b32 s0, 0
	v_ldexp_f64 v[1:2], v[1:2], 32
	s_brev_b32 s1, 8
	v_mov_b32_e32 v9, s11
	s_mov_b64 s[4:5], 0
	v_add_f64 v[1:2], v[1:2], v[3:4]
	s_waitcnt lgkmcnt(0)
	v_add_f64 v[1:2], s[22:23], -v[1:2]
	v_cmp_gt_f64_e32 vcc, s[0:1], v[1:2]
	s_and_b64 s[0:1], vcc, exec
	s_cselect_b32 s0, 0x100, 0
	v_ldexp_f64 v[1:2], v[1:2], s0
	s_cselect_b32 s0, 0xffffff80, 0
	v_rsq_f64_e32 v[3:4], v[1:2]
	v_mul_f64 v[5:6], v[1:2], v[3:4]
	v_mul_f64 v[3:4], v[3:4], 0.5
	v_fma_f64 v[7:8], -v[3:4], v[5:6], 0.5
	v_fma_f64 v[5:6], v[5:6], v[7:8], v[5:6]
	v_fma_f64 v[3:4], v[3:4], v[7:8], v[3:4]
	v_fma_f64 v[7:8], -v[5:6], v[5:6], v[1:2]
	v_fma_f64 v[5:6], v[7:8], v[3:4], v[5:6]
	v_fma_f64 v[7:8], -v[5:6], v[5:6], v[1:2]
	v_fma_f64 v[3:4], v[7:8], v[3:4], v[5:6]
	v_mov_b32_e32 v5, 0x260
	v_cmp_class_f64_e32 vcc, v[1:2], v5
	v_mov_b32_e32 v6, s11
	v_lshlrev_b32_e32 v7, 2, v0
	v_ldexp_f64 v[3:4], v[3:4], s0
	s_movk_i32 s0, 0xffe0
	v_cndmask_b32_e32 v2, v4, v2, vcc
	v_cndmask_b32_e32 v1, v3, v1, vcc
	v_add_f64 v[1:2], s[20:21], -v[1:2]
	v_add_co_u32_e32 v8, vcc, s10, v7
	v_addc_co_u32_e32 v9, vcc, 0, v9, vcc
	v_trunc_f64_e32 v[2:3], v[1:2]
	v_mov_b32_e32 v1, 0
	v_ldexp_f64 v[4:5], v[2:3], s0
	s_mov_b32 s0, 0
	s_mov_b32 s1, 0xc1f00000
	v_floor_f64_e32 v[4:5], v[4:5]
	v_fma_f64 v[2:3], v[4:5], s[0:1], v[2:3]
	v_cvt_i32_f64_e32 v4, v[4:5]
	s_lshl_b64 s[0:1], s[14:15], 2
	v_mov_b32_e32 v5, s1
	v_readfirstlane_b32 s1, v4
	s_mul_i32 s11, s12, s1
	v_cvt_u32_f64_e32 v2, v[2:3]
	v_mul_lo_u32 v3, s14, v4
	v_mul_hi_u32 v10, s14, v2
	v_readfirstlane_b32 s17, v2
	v_mul_lo_u32 v4, s15, v2
	v_mul_lo_u32 v2, s14, v2
	s_add_u32 s18, s17, 1
	s_addc_u32 s20, s1, 0
	s_mul_hi_u32 s19, s12, s17
	s_mul_hi_u32 s21, s18, s17
	s_mul_i32 s1, s18, s1
	s_mul_i32 s22, s18, s17
	s_add_u32 s18, s18, s6
	v_add_u32_e32 v3, v10, v3
	s_mul_i32 s13, s13, s17
	s_mul_i32 s12, s12, s17
	;; [unrolled: 1-line block ×3, first 2 shown]
	s_addc_u32 s20, s20, 0
	s_add_i32 s11, s19, s11
	v_add_u32_e32 v3, v3, v4
	s_add_i32 s11, s11, s13
	v_lshlrev_b64 v[2:3], 2, v[2:3]
	s_sub_u32 s12, s18, s12
	s_subb_u32 s11, s20, s11
	s_add_i32 s1, s21, s1
	v_add_co_u32_e32 v10, vcc, s10, v2
	v_addc_co_u32_e32 v11, vcc, v6, v3, vcc
	s_add_i32 s1, s1, s17
	v_add_co_u32_e32 v4, vcc, s0, v10
	s_lshr_b32 s0, s1, 31
	s_add_u32 s0, s22, s0
	s_addc_u32 s1, s1, 0
	s_ashr_i64 s[0:1], s[0:1], 1
	s_add_u32 s0, s12, s0
	s_addc_u32 s1, s11, s1
	s_mul_hi_u32 s10, s14, s0
	s_mul_i32 s1, s14, s1
	v_addc_co_u32_e32 v5, vcc, v11, v5, vcc
	s_mul_i32 s11, s15, s0
	s_add_i32 s1, s10, s1
	v_add_co_u32_e32 v6, vcc, v10, v7
	s_and_b32 s13, s16, 0xffff
	s_mul_i32 s0, s14, s0
	s_add_i32 s1, s1, s11
	v_addc_co_u32_e32 v7, vcc, 0, v11, vcc
	s_lshl_b32 s12, s13, 2
	s_lshl_b64 s[10:11], s[0:1], 2
	s_lshl_b32 s13, s13, 2
.LBB17_2:                               ; =>This Inner Loop Header: Depth=1
	v_add_co_u32_e32 v10, vcc, v8, v2
	v_addc_co_u32_e32 v11, vcc, v9, v3, vcc
	v_mov_b32_e32 v13, s11
	v_add_co_u32_e32 v12, vcc, s10, v8
	v_addc_co_u32_e32 v13, vcc, v9, v13, vcc
	global_load_dword v14, v[10:11], off
	global_load_dword v15, v[12:13], off
	v_add_co_u32_e32 v6, vcc, s13, v6
	v_addc_co_u32_e32 v7, vcc, 0, v7, vcc
	v_cmp_ge_u64_e64 s[0:1], v[6:7], v[4:5]
	v_add_co_u32_e32 v8, vcc, s12, v8
	v_addc_co_u32_e32 v9, vcc, 0, v9, vcc
	s_or_b64 s[4:5], s[0:1], s[4:5]
	s_waitcnt vmcnt(0)
	v_sub_f32_e32 v10, v14, v15
	v_add_f32_e64 v1, v1, |v10|
	s_andn2_b64 exec, exec, s[4:5]
	s_cbranch_execnz .LBB17_2
; %bb.3:
	s_or_b64 exec, exec, s[4:5]
.LBB17_4:
	s_or_b64 exec, exec, s[2:3]
	v_mbcnt_lo_u32_b32 v2, -1, 0
	v_mbcnt_hi_u32_b32 v6, -1, v2
	v_mov_b32_e32 v2, 0x80
	v_lshl_or_b32 v2, v6, 2, v2
	ds_bpermute_b32 v3, v2, v1
	v_and_b32_e32 v7, 63, v6
	v_cmp_gt_u32_e32 vcc, 48, v7
	v_cndmask_b32_e64 v4, 0, 16, vcc
	v_cmp_gt_u32_e32 vcc, 56, v7
	s_waitcnt lgkmcnt(0)
	v_add_f32_e32 v5, v1, v3
	v_add_lshl_u32 v1, v4, v6, 2
	ds_bpermute_b32 v4, v1, v5
	v_cndmask_b32_e64 v3, 0, 8, vcc
	v_add_lshl_u32 v3, v3, v6, 2
	v_cmp_gt_u32_e32 vcc, 60, v7
	s_waitcnt lgkmcnt(0)
	v_add_f32_e32 v5, v5, v4
	ds_bpermute_b32 v8, v3, v5
	v_cndmask_b32_e64 v4, 0, 4, vcc
	v_add_lshl_u32 v4, v4, v6, 2
	v_cmp_gt_u32_e32 vcc, 62, v7
	s_waitcnt lgkmcnt(0)
	s_barrier
	v_add_f32_e32 v8, v5, v8
	ds_bpermute_b32 v9, v4, v8
	v_cndmask_b32_e64 v5, 0, 2, vcc
	v_add_lshl_u32 v5, v5, v6, 2
	v_cmp_ne_u32_e32 vcc, 63, v7
	v_addc_co_u32_e32 v6, vcc, 0, v6, vcc
	s_waitcnt lgkmcnt(0)
	v_add_f32_e32 v9, v8, v9
	ds_bpermute_b32 v10, v5, v9
	v_lshlrev_b32_e32 v6, 2, v6
	v_and_b32_e32 v8, 63, v0
	v_cmp_eq_u32_e32 vcc, 0, v8
	s_waitcnt lgkmcnt(0)
	v_add_f32_e32 v7, v9, v10
	ds_bpermute_b32 v9, v6, v7
	s_and_saveexec_b64 s[0:1], vcc
	s_cbranch_execz .LBB17_6
; %bb.5:
	s_waitcnt lgkmcnt(0)
	v_add_f32_e32 v7, v7, v9
	v_lshrrev_b32_e32 v9, 4, v0
	ds_write_b32 v9, v7
.LBB17_6:
	s_or_b64 exec, exec, s[0:1]
	s_and_b32 s0, 0xffff, s16
	s_lshr_b32 s0, s0, 6
	v_cmp_gt_u32_e32 vcc, s0, v0
	v_mov_b32_e32 v7, 0
	s_waitcnt lgkmcnt(0)
	s_barrier
	s_and_saveexec_b64 s[0:1], vcc
	s_cbranch_execnz .LBB17_10
; %bb.7:
	s_or_b64 exec, exec, s[0:1]
	v_cmp_gt_u32_e32 vcc, 64, v0
	s_and_saveexec_b64 s[0:1], vcc
	s_cbranch_execnz .LBB17_11
.LBB17_8:
	s_or_b64 exec, exec, s[0:1]
	v_cmp_eq_u32_e32 vcc, 0, v0
	s_and_saveexec_b64 s[0:1], vcc
	s_cbranch_execnz .LBB17_12
.LBB17_9:
	s_endpgm
.LBB17_10:
	v_lshlrev_b32_e32 v7, 2, v8
	ds_read_b32 v7, v7
	s_or_b64 exec, exec, s[0:1]
	v_cmp_gt_u32_e32 vcc, 64, v0
	s_and_saveexec_b64 s[0:1], vcc
	s_cbranch_execz .LBB17_8
.LBB17_11:
	s_waitcnt lgkmcnt(0)
	ds_bpermute_b32 v2, v2, v7
	s_waitcnt lgkmcnt(0)
	v_add_f32_e32 v2, v7, v2
	ds_bpermute_b32 v1, v1, v2
	s_waitcnt lgkmcnt(0)
	v_add_f32_e32 v1, v2, v1
	;; [unrolled: 3-line block ×6, first 2 shown]
	s_or_b64 exec, exec, s[0:1]
	v_cmp_eq_u32_e32 vcc, 0, v0
	s_and_saveexec_b64 s[0:1], vcc
	s_cbranch_execz .LBB17_9
.LBB17_12:
	s_lshl_b64 s[0:1], s[6:7], 2
	s_add_u32 s0, s8, s0
	s_addc_u32 s1, s9, s1
	v_mov_b32_e32 v0, 0
	s_waitcnt lgkmcnt(0)
	global_store_dword v0, v7, s[0:1]
	s_endpgm
	.section	.rodata,"a",@progbits
	.p2align	6, 0x0
	.amdhsa_kernel _ZN2at6native12_GLOBAL__N_122pdist_kernel_cuda_implIfNS1_5distsIfE3oneEEEvPT_PKS6_llS6_dd
		.amdhsa_group_segment_fixed_size 1024
		.amdhsa_private_segment_fixed_size 0
		.amdhsa_kernarg_size 312
		.amdhsa_user_sgpr_count 6
		.amdhsa_user_sgpr_private_segment_buffer 1
		.amdhsa_user_sgpr_dispatch_ptr 0
		.amdhsa_user_sgpr_queue_ptr 0
		.amdhsa_user_sgpr_kernarg_segment_ptr 1
		.amdhsa_user_sgpr_dispatch_id 0
		.amdhsa_user_sgpr_flat_scratch_init 0
		.amdhsa_user_sgpr_private_segment_size 0
		.amdhsa_uses_dynamic_stack 0
		.amdhsa_system_sgpr_private_segment_wavefront_offset 0
		.amdhsa_system_sgpr_workgroup_id_x 1
		.amdhsa_system_sgpr_workgroup_id_y 0
		.amdhsa_system_sgpr_workgroup_id_z 0
		.amdhsa_system_sgpr_workgroup_info 0
		.amdhsa_system_vgpr_workitem_id 0
		.amdhsa_next_free_vgpr 16
		.amdhsa_next_free_sgpr 24
		.amdhsa_reserve_vcc 1
		.amdhsa_reserve_flat_scratch 0
		.amdhsa_float_round_mode_32 0
		.amdhsa_float_round_mode_16_64 0
		.amdhsa_float_denorm_mode_32 3
		.amdhsa_float_denorm_mode_16_64 3
		.amdhsa_dx10_clamp 1
		.amdhsa_ieee_mode 1
		.amdhsa_fp16_overflow 0
		.amdhsa_exception_fp_ieee_invalid_op 0
		.amdhsa_exception_fp_denorm_src 0
		.amdhsa_exception_fp_ieee_div_zero 0
		.amdhsa_exception_fp_ieee_overflow 0
		.amdhsa_exception_fp_ieee_underflow 0
		.amdhsa_exception_fp_ieee_inexact 0
		.amdhsa_exception_int_div_zero 0
	.end_amdhsa_kernel
	.section	.text._ZN2at6native12_GLOBAL__N_122pdist_kernel_cuda_implIfNS1_5distsIfE3oneEEEvPT_PKS6_llS6_dd,"axG",@progbits,_ZN2at6native12_GLOBAL__N_122pdist_kernel_cuda_implIfNS1_5distsIfE3oneEEEvPT_PKS6_llS6_dd,comdat
.Lfunc_end17:
	.size	_ZN2at6native12_GLOBAL__N_122pdist_kernel_cuda_implIfNS1_5distsIfE3oneEEEvPT_PKS6_llS6_dd, .Lfunc_end17-_ZN2at6native12_GLOBAL__N_122pdist_kernel_cuda_implIfNS1_5distsIfE3oneEEEvPT_PKS6_llS6_dd
                                        ; -- End function
	.set _ZN2at6native12_GLOBAL__N_122pdist_kernel_cuda_implIfNS1_5distsIfE3oneEEEvPT_PKS6_llS6_dd.num_vgpr, 16
	.set _ZN2at6native12_GLOBAL__N_122pdist_kernel_cuda_implIfNS1_5distsIfE3oneEEEvPT_PKS6_llS6_dd.num_agpr, 0
	.set _ZN2at6native12_GLOBAL__N_122pdist_kernel_cuda_implIfNS1_5distsIfE3oneEEEvPT_PKS6_llS6_dd.numbered_sgpr, 24
	.set _ZN2at6native12_GLOBAL__N_122pdist_kernel_cuda_implIfNS1_5distsIfE3oneEEEvPT_PKS6_llS6_dd.num_named_barrier, 0
	.set _ZN2at6native12_GLOBAL__N_122pdist_kernel_cuda_implIfNS1_5distsIfE3oneEEEvPT_PKS6_llS6_dd.private_seg_size, 0
	.set _ZN2at6native12_GLOBAL__N_122pdist_kernel_cuda_implIfNS1_5distsIfE3oneEEEvPT_PKS6_llS6_dd.uses_vcc, 1
	.set _ZN2at6native12_GLOBAL__N_122pdist_kernel_cuda_implIfNS1_5distsIfE3oneEEEvPT_PKS6_llS6_dd.uses_flat_scratch, 0
	.set _ZN2at6native12_GLOBAL__N_122pdist_kernel_cuda_implIfNS1_5distsIfE3oneEEEvPT_PKS6_llS6_dd.has_dyn_sized_stack, 0
	.set _ZN2at6native12_GLOBAL__N_122pdist_kernel_cuda_implIfNS1_5distsIfE3oneEEEvPT_PKS6_llS6_dd.has_recursion, 0
	.set _ZN2at6native12_GLOBAL__N_122pdist_kernel_cuda_implIfNS1_5distsIfE3oneEEEvPT_PKS6_llS6_dd.has_indirect_call, 0
	.section	.AMDGPU.csdata,"",@progbits
; Kernel info:
; codeLenInByte = 1148
; TotalNumSgprs: 28
; NumVgprs: 16
; ScratchSize: 0
; MemoryBound: 0
; FloatMode: 240
; IeeeMode: 1
; LDSByteSize: 1024 bytes/workgroup (compile time only)
; SGPRBlocks: 3
; VGPRBlocks: 3
; NumSGPRsForWavesPerEU: 28
; NumVGPRsForWavesPerEU: 16
; Occupancy: 10
; WaveLimiterHint : 0
; COMPUTE_PGM_RSRC2:SCRATCH_EN: 0
; COMPUTE_PGM_RSRC2:USER_SGPR: 6
; COMPUTE_PGM_RSRC2:TRAP_HANDLER: 0
; COMPUTE_PGM_RSRC2:TGID_X_EN: 1
; COMPUTE_PGM_RSRC2:TGID_Y_EN: 0
; COMPUTE_PGM_RSRC2:TGID_Z_EN: 0
; COMPUTE_PGM_RSRC2:TIDIG_COMP_CNT: 0
	.section	.text._ZN2at6native12_GLOBAL__N_122pdist_kernel_cuda_implIfNS1_5distsIfE3twoEEEvPT_PKS6_llS6_dd,"axG",@progbits,_ZN2at6native12_GLOBAL__N_122pdist_kernel_cuda_implIfNS1_5distsIfE3twoEEEvPT_PKS6_llS6_dd,comdat
	.globl	_ZN2at6native12_GLOBAL__N_122pdist_kernel_cuda_implIfNS1_5distsIfE3twoEEEvPT_PKS6_llS6_dd ; -- Begin function _ZN2at6native12_GLOBAL__N_122pdist_kernel_cuda_implIfNS1_5distsIfE3twoEEEvPT_PKS6_llS6_dd
	.p2align	8
	.type	_ZN2at6native12_GLOBAL__N_122pdist_kernel_cuda_implIfNS1_5distsIfE3twoEEEvPT_PKS6_llS6_dd,@function
_ZN2at6native12_GLOBAL__N_122pdist_kernel_cuda_implIfNS1_5distsIfE3twoEEEvPT_PKS6_llS6_dd: ; @_ZN2at6native12_GLOBAL__N_122pdist_kernel_cuda_implIfNS1_5distsIfE3twoEEEvPT_PKS6_llS6_dd
; %bb.0:
	s_load_dwordx8 s[8:15], s[4:5], 0x0
	s_load_dword s16, s[4:5], 0x44
	v_mov_b32_e32 v1, 0
	s_mov_b32 s7, 0
	s_waitcnt lgkmcnt(0)
	v_cmp_gt_i64_e32 vcc, s[14:15], v[0:1]
	s_and_saveexec_b64 s[2:3], vcc
	s_cbranch_execz .LBB18_4
; %bb.1:
	s_lshl_b64 s[0:1], s[6:7], 1
	v_cvt_f64_u32_e32 v[1:2], s1
	v_cvt_f64_u32_e32 v[3:4], s0
	s_load_dwordx4 s[20:23], s[4:5], 0x28
	s_mov_b32 s0, 0
	v_ldexp_f64 v[1:2], v[1:2], 32
	s_brev_b32 s1, 8
	v_mov_b32_e32 v9, s11
	s_mov_b64 s[4:5], 0
	v_add_f64 v[1:2], v[1:2], v[3:4]
	s_waitcnt lgkmcnt(0)
	v_add_f64 v[1:2], s[22:23], -v[1:2]
	v_cmp_gt_f64_e32 vcc, s[0:1], v[1:2]
	s_and_b64 s[0:1], vcc, exec
	s_cselect_b32 s0, 0x100, 0
	v_ldexp_f64 v[1:2], v[1:2], s0
	s_cselect_b32 s0, 0xffffff80, 0
	v_rsq_f64_e32 v[3:4], v[1:2]
	v_mul_f64 v[5:6], v[1:2], v[3:4]
	v_mul_f64 v[3:4], v[3:4], 0.5
	v_fma_f64 v[7:8], -v[3:4], v[5:6], 0.5
	v_fma_f64 v[5:6], v[5:6], v[7:8], v[5:6]
	v_fma_f64 v[3:4], v[3:4], v[7:8], v[3:4]
	v_fma_f64 v[7:8], -v[5:6], v[5:6], v[1:2]
	v_fma_f64 v[5:6], v[7:8], v[3:4], v[5:6]
	v_fma_f64 v[7:8], -v[5:6], v[5:6], v[1:2]
	v_fma_f64 v[3:4], v[7:8], v[3:4], v[5:6]
	v_mov_b32_e32 v5, 0x260
	v_cmp_class_f64_e32 vcc, v[1:2], v5
	v_mov_b32_e32 v6, s11
	v_lshlrev_b32_e32 v7, 2, v0
	v_ldexp_f64 v[3:4], v[3:4], s0
	s_movk_i32 s0, 0xffe0
	v_cndmask_b32_e32 v2, v4, v2, vcc
	v_cndmask_b32_e32 v1, v3, v1, vcc
	v_add_f64 v[1:2], s[20:21], -v[1:2]
	v_add_co_u32_e32 v8, vcc, s10, v7
	v_addc_co_u32_e32 v9, vcc, 0, v9, vcc
	v_trunc_f64_e32 v[2:3], v[1:2]
	v_mov_b32_e32 v1, 0
	v_ldexp_f64 v[4:5], v[2:3], s0
	s_mov_b32 s0, 0
	s_mov_b32 s1, 0xc1f00000
	v_floor_f64_e32 v[4:5], v[4:5]
	v_fma_f64 v[2:3], v[4:5], s[0:1], v[2:3]
	v_cvt_i32_f64_e32 v4, v[4:5]
	s_lshl_b64 s[0:1], s[14:15], 2
	v_mov_b32_e32 v5, s1
	v_readfirstlane_b32 s1, v4
	s_mul_i32 s11, s12, s1
	v_cvt_u32_f64_e32 v2, v[2:3]
	v_mul_lo_u32 v3, s14, v4
	v_mul_hi_u32 v10, s14, v2
	v_readfirstlane_b32 s17, v2
	v_mul_lo_u32 v4, s15, v2
	v_mul_lo_u32 v2, s14, v2
	s_add_u32 s18, s17, 1
	s_addc_u32 s20, s1, 0
	s_mul_hi_u32 s19, s12, s17
	s_mul_hi_u32 s21, s18, s17
	s_mul_i32 s1, s18, s1
	s_mul_i32 s22, s18, s17
	s_add_u32 s18, s18, s6
	v_add_u32_e32 v3, v10, v3
	s_mul_i32 s13, s13, s17
	s_mul_i32 s12, s12, s17
	;; [unrolled: 1-line block ×3, first 2 shown]
	s_addc_u32 s20, s20, 0
	s_add_i32 s11, s19, s11
	v_add_u32_e32 v3, v3, v4
	s_add_i32 s11, s11, s13
	v_lshlrev_b64 v[2:3], 2, v[2:3]
	s_sub_u32 s12, s18, s12
	s_subb_u32 s11, s20, s11
	s_add_i32 s1, s21, s1
	v_add_co_u32_e32 v10, vcc, s10, v2
	v_addc_co_u32_e32 v11, vcc, v6, v3, vcc
	s_add_i32 s1, s1, s17
	v_add_co_u32_e32 v4, vcc, s0, v10
	s_lshr_b32 s0, s1, 31
	s_add_u32 s0, s22, s0
	s_addc_u32 s1, s1, 0
	s_ashr_i64 s[0:1], s[0:1], 1
	s_add_u32 s0, s12, s0
	s_addc_u32 s1, s11, s1
	s_mul_hi_u32 s10, s14, s0
	s_mul_i32 s1, s14, s1
	v_addc_co_u32_e32 v5, vcc, v11, v5, vcc
	s_mul_i32 s11, s15, s0
	s_add_i32 s1, s10, s1
	v_add_co_u32_e32 v6, vcc, v10, v7
	s_and_b32 s13, s16, 0xffff
	s_mul_i32 s0, s14, s0
	s_add_i32 s1, s1, s11
	v_addc_co_u32_e32 v7, vcc, 0, v11, vcc
	s_lshl_b32 s12, s13, 2
	s_lshl_b64 s[10:11], s[0:1], 2
	s_lshl_b32 s13, s13, 2
.LBB18_2:                               ; =>This Inner Loop Header: Depth=1
	v_add_co_u32_e32 v10, vcc, v8, v2
	v_addc_co_u32_e32 v11, vcc, v9, v3, vcc
	v_mov_b32_e32 v13, s11
	v_add_co_u32_e32 v12, vcc, s10, v8
	v_addc_co_u32_e32 v13, vcc, v9, v13, vcc
	global_load_dword v14, v[10:11], off
	global_load_dword v15, v[12:13], off
	v_add_co_u32_e32 v6, vcc, s13, v6
	v_addc_co_u32_e32 v7, vcc, 0, v7, vcc
	v_cmp_ge_u64_e64 s[0:1], v[6:7], v[4:5]
	v_add_co_u32_e32 v8, vcc, s12, v8
	v_addc_co_u32_e32 v9, vcc, 0, v9, vcc
	s_or_b64 s[4:5], s[0:1], s[4:5]
	s_waitcnt vmcnt(0)
	v_sub_f32_e32 v10, v14, v15
	v_fmac_f32_e32 v1, v10, v10
	s_andn2_b64 exec, exec, s[4:5]
	s_cbranch_execnz .LBB18_2
; %bb.3:
	s_or_b64 exec, exec, s[4:5]
.LBB18_4:
	s_or_b64 exec, exec, s[2:3]
	v_mbcnt_lo_u32_b32 v2, -1, 0
	v_mbcnt_hi_u32_b32 v6, -1, v2
	v_mov_b32_e32 v2, 0x80
	v_lshl_or_b32 v2, v6, 2, v2
	ds_bpermute_b32 v3, v2, v1
	v_and_b32_e32 v7, 63, v6
	v_cmp_gt_u32_e32 vcc, 48, v7
	v_cndmask_b32_e64 v4, 0, 16, vcc
	v_cmp_gt_u32_e32 vcc, 56, v7
	s_waitcnt lgkmcnt(0)
	v_add_f32_e32 v5, v1, v3
	v_add_lshl_u32 v1, v4, v6, 2
	ds_bpermute_b32 v4, v1, v5
	v_cndmask_b32_e64 v3, 0, 8, vcc
	v_add_lshl_u32 v3, v3, v6, 2
	v_cmp_gt_u32_e32 vcc, 60, v7
	s_waitcnt lgkmcnt(0)
	v_add_f32_e32 v5, v5, v4
	ds_bpermute_b32 v8, v3, v5
	v_cndmask_b32_e64 v4, 0, 4, vcc
	v_add_lshl_u32 v4, v4, v6, 2
	v_cmp_gt_u32_e32 vcc, 62, v7
	s_waitcnt lgkmcnt(0)
	s_barrier
	v_add_f32_e32 v8, v5, v8
	ds_bpermute_b32 v9, v4, v8
	v_cndmask_b32_e64 v5, 0, 2, vcc
	v_add_lshl_u32 v5, v5, v6, 2
	v_cmp_ne_u32_e32 vcc, 63, v7
	v_addc_co_u32_e32 v6, vcc, 0, v6, vcc
	s_waitcnt lgkmcnt(0)
	v_add_f32_e32 v9, v8, v9
	ds_bpermute_b32 v10, v5, v9
	v_lshlrev_b32_e32 v6, 2, v6
	v_and_b32_e32 v8, 63, v0
	v_cmp_eq_u32_e32 vcc, 0, v8
	s_waitcnt lgkmcnt(0)
	v_add_f32_e32 v7, v9, v10
	ds_bpermute_b32 v9, v6, v7
	s_and_saveexec_b64 s[0:1], vcc
	s_cbranch_execz .LBB18_6
; %bb.5:
	s_waitcnt lgkmcnt(0)
	v_add_f32_e32 v7, v7, v9
	v_lshrrev_b32_e32 v9, 4, v0
	ds_write_b32 v9, v7
.LBB18_6:
	s_or_b64 exec, exec, s[0:1]
	s_and_b32 s0, 0xffff, s16
	s_lshr_b32 s0, s0, 6
	v_cmp_gt_u32_e32 vcc, s0, v0
	v_mov_b32_e32 v7, 0
	s_waitcnt lgkmcnt(0)
	s_barrier
	s_and_saveexec_b64 s[0:1], vcc
	s_cbranch_execnz .LBB18_10
; %bb.7:
	s_or_b64 exec, exec, s[0:1]
	v_cmp_gt_u32_e32 vcc, 64, v0
	s_and_saveexec_b64 s[0:1], vcc
	s_cbranch_execnz .LBB18_11
.LBB18_8:
	s_or_b64 exec, exec, s[0:1]
	v_cmp_eq_u32_e32 vcc, 0, v0
	s_and_saveexec_b64 s[0:1], vcc
	s_cbranch_execnz .LBB18_12
.LBB18_9:
	s_endpgm
.LBB18_10:
	v_lshlrev_b32_e32 v7, 2, v8
	ds_read_b32 v7, v7
	s_or_b64 exec, exec, s[0:1]
	v_cmp_gt_u32_e32 vcc, 64, v0
	s_and_saveexec_b64 s[0:1], vcc
	s_cbranch_execz .LBB18_8
.LBB18_11:
	s_waitcnt lgkmcnt(0)
	ds_bpermute_b32 v2, v2, v7
	s_waitcnt lgkmcnt(0)
	v_add_f32_e32 v2, v7, v2
	ds_bpermute_b32 v1, v1, v2
	s_waitcnt lgkmcnt(0)
	v_add_f32_e32 v1, v2, v1
	;; [unrolled: 3-line block ×6, first 2 shown]
	s_or_b64 exec, exec, s[0:1]
	v_cmp_eq_u32_e32 vcc, 0, v0
	s_and_saveexec_b64 s[0:1], vcc
	s_cbranch_execz .LBB18_9
.LBB18_12:
	s_mov_b32 s2, 0xf800000
	s_waitcnt lgkmcnt(0)
	v_mul_f32_e32 v0, 0x4f800000, v7
	v_cmp_gt_f32_e32 vcc, s2, v7
	v_cndmask_b32_e32 v0, v7, v0, vcc
	v_sqrt_f32_e32 v1, v0
	s_lshl_b64 s[0:1], s[6:7], 2
	s_add_u32 s2, s8, s0
	s_addc_u32 s3, s9, s1
	v_add_u32_e32 v3, -1, v1
	v_fma_f32 v4, -v3, v1, v0
	v_cmp_ge_f32_e64 s[0:1], 0, v4
	v_add_u32_e32 v4, 1, v1
	v_cndmask_b32_e64 v3, v1, v3, s[0:1]
	v_fma_f32 v1, -v4, v1, v0
	v_cmp_lt_f32_e64 s[0:1], 0, v1
	v_cndmask_b32_e64 v1, v3, v4, s[0:1]
	v_mul_f32_e32 v3, 0x37800000, v1
	v_cndmask_b32_e32 v1, v1, v3, vcc
	v_mov_b32_e32 v3, 0x260
	v_cmp_class_f32_e32 vcc, v0, v3
	v_mov_b32_e32 v2, 0
	v_cndmask_b32_e32 v0, v1, v0, vcc
	global_store_dword v2, v0, s[2:3]
	s_endpgm
	.section	.rodata,"a",@progbits
	.p2align	6, 0x0
	.amdhsa_kernel _ZN2at6native12_GLOBAL__N_122pdist_kernel_cuda_implIfNS1_5distsIfE3twoEEEvPT_PKS6_llS6_dd
		.amdhsa_group_segment_fixed_size 1024
		.amdhsa_private_segment_fixed_size 0
		.amdhsa_kernarg_size 312
		.amdhsa_user_sgpr_count 6
		.amdhsa_user_sgpr_private_segment_buffer 1
		.amdhsa_user_sgpr_dispatch_ptr 0
		.amdhsa_user_sgpr_queue_ptr 0
		.amdhsa_user_sgpr_kernarg_segment_ptr 1
		.amdhsa_user_sgpr_dispatch_id 0
		.amdhsa_user_sgpr_flat_scratch_init 0
		.amdhsa_user_sgpr_private_segment_size 0
		.amdhsa_uses_dynamic_stack 0
		.amdhsa_system_sgpr_private_segment_wavefront_offset 0
		.amdhsa_system_sgpr_workgroup_id_x 1
		.amdhsa_system_sgpr_workgroup_id_y 0
		.amdhsa_system_sgpr_workgroup_id_z 0
		.amdhsa_system_sgpr_workgroup_info 0
		.amdhsa_system_vgpr_workitem_id 0
		.amdhsa_next_free_vgpr 16
		.amdhsa_next_free_sgpr 24
		.amdhsa_reserve_vcc 1
		.amdhsa_reserve_flat_scratch 0
		.amdhsa_float_round_mode_32 0
		.amdhsa_float_round_mode_16_64 0
		.amdhsa_float_denorm_mode_32 3
		.amdhsa_float_denorm_mode_16_64 3
		.amdhsa_dx10_clamp 1
		.amdhsa_ieee_mode 1
		.amdhsa_fp16_overflow 0
		.amdhsa_exception_fp_ieee_invalid_op 0
		.amdhsa_exception_fp_denorm_src 0
		.amdhsa_exception_fp_ieee_div_zero 0
		.amdhsa_exception_fp_ieee_overflow 0
		.amdhsa_exception_fp_ieee_underflow 0
		.amdhsa_exception_fp_ieee_inexact 0
		.amdhsa_exception_int_div_zero 0
	.end_amdhsa_kernel
	.section	.text._ZN2at6native12_GLOBAL__N_122pdist_kernel_cuda_implIfNS1_5distsIfE3twoEEEvPT_PKS6_llS6_dd,"axG",@progbits,_ZN2at6native12_GLOBAL__N_122pdist_kernel_cuda_implIfNS1_5distsIfE3twoEEEvPT_PKS6_llS6_dd,comdat
.Lfunc_end18:
	.size	_ZN2at6native12_GLOBAL__N_122pdist_kernel_cuda_implIfNS1_5distsIfE3twoEEEvPT_PKS6_llS6_dd, .Lfunc_end18-_ZN2at6native12_GLOBAL__N_122pdist_kernel_cuda_implIfNS1_5distsIfE3twoEEEvPT_PKS6_llS6_dd
                                        ; -- End function
	.set _ZN2at6native12_GLOBAL__N_122pdist_kernel_cuda_implIfNS1_5distsIfE3twoEEEvPT_PKS6_llS6_dd.num_vgpr, 16
	.set _ZN2at6native12_GLOBAL__N_122pdist_kernel_cuda_implIfNS1_5distsIfE3twoEEEvPT_PKS6_llS6_dd.num_agpr, 0
	.set _ZN2at6native12_GLOBAL__N_122pdist_kernel_cuda_implIfNS1_5distsIfE3twoEEEvPT_PKS6_llS6_dd.numbered_sgpr, 24
	.set _ZN2at6native12_GLOBAL__N_122pdist_kernel_cuda_implIfNS1_5distsIfE3twoEEEvPT_PKS6_llS6_dd.num_named_barrier, 0
	.set _ZN2at6native12_GLOBAL__N_122pdist_kernel_cuda_implIfNS1_5distsIfE3twoEEEvPT_PKS6_llS6_dd.private_seg_size, 0
	.set _ZN2at6native12_GLOBAL__N_122pdist_kernel_cuda_implIfNS1_5distsIfE3twoEEEvPT_PKS6_llS6_dd.uses_vcc, 1
	.set _ZN2at6native12_GLOBAL__N_122pdist_kernel_cuda_implIfNS1_5distsIfE3twoEEEvPT_PKS6_llS6_dd.uses_flat_scratch, 0
	.set _ZN2at6native12_GLOBAL__N_122pdist_kernel_cuda_implIfNS1_5distsIfE3twoEEEvPT_PKS6_llS6_dd.has_dyn_sized_stack, 0
	.set _ZN2at6native12_GLOBAL__N_122pdist_kernel_cuda_implIfNS1_5distsIfE3twoEEEvPT_PKS6_llS6_dd.has_recursion, 0
	.set _ZN2at6native12_GLOBAL__N_122pdist_kernel_cuda_implIfNS1_5distsIfE3twoEEEvPT_PKS6_llS6_dd.has_indirect_call, 0
	.section	.AMDGPU.csdata,"",@progbits
; Kernel info:
; codeLenInByte = 1256
; TotalNumSgprs: 28
; NumVgprs: 16
; ScratchSize: 0
; MemoryBound: 0
; FloatMode: 240
; IeeeMode: 1
; LDSByteSize: 1024 bytes/workgroup (compile time only)
; SGPRBlocks: 3
; VGPRBlocks: 3
; NumSGPRsForWavesPerEU: 28
; NumVGPRsForWavesPerEU: 16
; Occupancy: 10
; WaveLimiterHint : 0
; COMPUTE_PGM_RSRC2:SCRATCH_EN: 0
; COMPUTE_PGM_RSRC2:USER_SGPR: 6
; COMPUTE_PGM_RSRC2:TRAP_HANDLER: 0
; COMPUTE_PGM_RSRC2:TGID_X_EN: 1
; COMPUTE_PGM_RSRC2:TGID_Y_EN: 0
; COMPUTE_PGM_RSRC2:TGID_Z_EN: 0
; COMPUTE_PGM_RSRC2:TIDIG_COMP_CNT: 0
	.section	.text._ZN2at6native12_GLOBAL__N_122pdist_kernel_cuda_implIfNS1_5distsIfE3infEEEvPT_PKS6_llS6_dd,"axG",@progbits,_ZN2at6native12_GLOBAL__N_122pdist_kernel_cuda_implIfNS1_5distsIfE3infEEEvPT_PKS6_llS6_dd,comdat
	.globl	_ZN2at6native12_GLOBAL__N_122pdist_kernel_cuda_implIfNS1_5distsIfE3infEEEvPT_PKS6_llS6_dd ; -- Begin function _ZN2at6native12_GLOBAL__N_122pdist_kernel_cuda_implIfNS1_5distsIfE3infEEEvPT_PKS6_llS6_dd
	.p2align	8
	.type	_ZN2at6native12_GLOBAL__N_122pdist_kernel_cuda_implIfNS1_5distsIfE3infEEEvPT_PKS6_llS6_dd,@function
_ZN2at6native12_GLOBAL__N_122pdist_kernel_cuda_implIfNS1_5distsIfE3infEEEvPT_PKS6_llS6_dd: ; @_ZN2at6native12_GLOBAL__N_122pdist_kernel_cuda_implIfNS1_5distsIfE3infEEEvPT_PKS6_llS6_dd
; %bb.0:
	s_load_dwordx8 s[8:15], s[4:5], 0x0
	s_load_dword s16, s[4:5], 0x44
	v_mov_b32_e32 v1, 0
	s_mov_b32 s7, 0
	s_waitcnt lgkmcnt(0)
	v_cmp_gt_i64_e32 vcc, s[14:15], v[0:1]
	s_and_saveexec_b64 s[2:3], vcc
	s_cbranch_execz .LBB19_4
; %bb.1:
	s_lshl_b64 s[0:1], s[6:7], 1
	v_cvt_f64_u32_e32 v[1:2], s1
	v_cvt_f64_u32_e32 v[3:4], s0
	s_load_dwordx4 s[20:23], s[4:5], 0x28
	s_mov_b32 s0, 0
	v_ldexp_f64 v[1:2], v[1:2], 32
	s_brev_b32 s1, 8
	v_mov_b32_e32 v9, s11
	s_mov_b64 s[4:5], 0
	v_add_f64 v[1:2], v[1:2], v[3:4]
	s_waitcnt lgkmcnt(0)
	v_add_f64 v[1:2], s[22:23], -v[1:2]
	v_cmp_gt_f64_e32 vcc, s[0:1], v[1:2]
	s_and_b64 s[0:1], vcc, exec
	s_cselect_b32 s0, 0x100, 0
	v_ldexp_f64 v[1:2], v[1:2], s0
	s_cselect_b32 s0, 0xffffff80, 0
	v_rsq_f64_e32 v[3:4], v[1:2]
	v_mul_f64 v[5:6], v[1:2], v[3:4]
	v_mul_f64 v[3:4], v[3:4], 0.5
	v_fma_f64 v[7:8], -v[3:4], v[5:6], 0.5
	v_fma_f64 v[5:6], v[5:6], v[7:8], v[5:6]
	v_fma_f64 v[3:4], v[3:4], v[7:8], v[3:4]
	v_fma_f64 v[7:8], -v[5:6], v[5:6], v[1:2]
	v_fma_f64 v[5:6], v[7:8], v[3:4], v[5:6]
	v_fma_f64 v[7:8], -v[5:6], v[5:6], v[1:2]
	v_fma_f64 v[3:4], v[7:8], v[3:4], v[5:6]
	v_mov_b32_e32 v5, 0x260
	v_cmp_class_f64_e32 vcc, v[1:2], v5
	v_mov_b32_e32 v6, s11
	v_lshlrev_b32_e32 v7, 2, v0
	v_ldexp_f64 v[3:4], v[3:4], s0
	s_movk_i32 s0, 0xffe0
	v_cndmask_b32_e32 v2, v4, v2, vcc
	v_cndmask_b32_e32 v1, v3, v1, vcc
	v_add_f64 v[1:2], s[20:21], -v[1:2]
	v_add_co_u32_e32 v8, vcc, s10, v7
	v_addc_co_u32_e32 v9, vcc, 0, v9, vcc
	v_trunc_f64_e32 v[2:3], v[1:2]
	v_mov_b32_e32 v1, 0
	v_ldexp_f64 v[4:5], v[2:3], s0
	s_mov_b32 s0, 0
	s_mov_b32 s1, 0xc1f00000
	v_floor_f64_e32 v[4:5], v[4:5]
	v_fma_f64 v[2:3], v[4:5], s[0:1], v[2:3]
	v_cvt_i32_f64_e32 v4, v[4:5]
	s_lshl_b64 s[0:1], s[14:15], 2
	v_mov_b32_e32 v5, s1
	v_readfirstlane_b32 s1, v4
	s_mul_i32 s11, s12, s1
	v_cvt_u32_f64_e32 v2, v[2:3]
	v_mul_lo_u32 v3, s14, v4
	v_mul_hi_u32 v10, s14, v2
	v_readfirstlane_b32 s17, v2
	v_mul_lo_u32 v4, s15, v2
	v_mul_lo_u32 v2, s14, v2
	s_add_u32 s18, s17, 1
	s_addc_u32 s20, s1, 0
	s_mul_hi_u32 s19, s12, s17
	s_mul_hi_u32 s21, s18, s17
	s_mul_i32 s1, s18, s1
	s_mul_i32 s22, s18, s17
	s_add_u32 s18, s18, s6
	v_add_u32_e32 v3, v10, v3
	s_mul_i32 s13, s13, s17
	s_mul_i32 s12, s12, s17
	;; [unrolled: 1-line block ×3, first 2 shown]
	s_addc_u32 s20, s20, 0
	s_add_i32 s11, s19, s11
	v_add_u32_e32 v3, v3, v4
	s_add_i32 s11, s11, s13
	v_lshlrev_b64 v[2:3], 2, v[2:3]
	s_sub_u32 s12, s18, s12
	s_subb_u32 s11, s20, s11
	s_add_i32 s1, s21, s1
	v_add_co_u32_e32 v10, vcc, s10, v2
	v_addc_co_u32_e32 v11, vcc, v6, v3, vcc
	s_add_i32 s1, s1, s17
	v_add_co_u32_e32 v4, vcc, s0, v10
	s_lshr_b32 s0, s1, 31
	s_add_u32 s0, s22, s0
	s_addc_u32 s1, s1, 0
	s_ashr_i64 s[0:1], s[0:1], 1
	s_add_u32 s0, s12, s0
	s_addc_u32 s1, s11, s1
	s_mul_hi_u32 s10, s14, s0
	s_mul_i32 s1, s14, s1
	v_addc_co_u32_e32 v5, vcc, v11, v5, vcc
	s_mul_i32 s11, s15, s0
	s_add_i32 s1, s10, s1
	v_add_co_u32_e32 v6, vcc, v10, v7
	s_and_b32 s13, s16, 0xffff
	s_mul_i32 s0, s14, s0
	s_add_i32 s1, s1, s11
	v_addc_co_u32_e32 v7, vcc, 0, v11, vcc
	s_lshl_b32 s12, s13, 2
	s_lshl_b64 s[10:11], s[0:1], 2
	s_lshl_b32 s13, s13, 2
.LBB19_2:                               ; =>This Inner Loop Header: Depth=1
	v_add_co_u32_e32 v10, vcc, v8, v2
	v_addc_co_u32_e32 v11, vcc, v9, v3, vcc
	v_mov_b32_e32 v13, s11
	v_add_co_u32_e32 v12, vcc, s10, v8
	v_addc_co_u32_e32 v13, vcc, v9, v13, vcc
	global_load_dword v14, v[10:11], off
	global_load_dword v15, v[12:13], off
	v_add_co_u32_e32 v6, vcc, s13, v6
	v_addc_co_u32_e32 v7, vcc, 0, v7, vcc
	v_cmp_ge_u64_e64 s[0:1], v[6:7], v[4:5]
	v_add_co_u32_e32 v8, vcc, s12, v8
	s_or_b64 s[4:5], s[0:1], s[4:5]
	v_addc_co_u32_e32 v9, vcc, 0, v9, vcc
	s_waitcnt vmcnt(0)
	v_sub_f32_e32 v10, v14, v15
	v_cmp_gt_f32_e64 s[0:1], |v10|, v1
	v_cndmask_b32_e64 v1, v1, |v10|, s[0:1]
	s_andn2_b64 exec, exec, s[4:5]
	s_cbranch_execnz .LBB19_2
; %bb.3:
	s_or_b64 exec, exec, s[4:5]
.LBB19_4:
	s_or_b64 exec, exec, s[2:3]
	v_mbcnt_lo_u32_b32 v2, -1, 0
	v_mbcnt_hi_u32_b32 v6, -1, v2
	v_mov_b32_e32 v2, 0x80
	v_lshl_or_b32 v2, v6, 2, v2
	ds_bpermute_b32 v3, v2, v1
	v_and_b32_e32 v9, 63, v6
	v_and_b32_e32 v8, 63, v0
	s_waitcnt lgkmcnt(0)
	s_barrier
	v_cmp_lt_f32_e32 vcc, v1, v3
	v_cndmask_b32_e32 v3, v1, v3, vcc
	v_cmp_gt_u32_e32 vcc, 48, v9
	v_cndmask_b32_e64 v1, 0, 16, vcc
	v_add_lshl_u32 v1, v1, v6, 2
	ds_bpermute_b32 v4, v1, v3
	s_waitcnt lgkmcnt(0)
	v_cmp_lt_f32_e32 vcc, v3, v4
	v_cndmask_b32_e32 v4, v3, v4, vcc
	v_cmp_gt_u32_e32 vcc, 56, v9
	v_cndmask_b32_e64 v3, 0, 8, vcc
	v_add_lshl_u32 v3, v3, v6, 2
	ds_bpermute_b32 v5, v3, v4
	s_waitcnt lgkmcnt(0)
	;; [unrolled: 7-line block ×4, first 2 shown]
	v_cmp_lt_f32_e32 vcc, v7, v10
	v_cndmask_b32_e32 v7, v7, v10, vcc
	v_cmp_ne_u32_e32 vcc, 63, v9
	v_addc_co_u32_e32 v6, vcc, 0, v6, vcc
	v_lshlrev_b32_e32 v6, 2, v6
	ds_bpermute_b32 v9, v6, v7
	v_cmp_eq_u32_e32 vcc, 0, v8
	s_and_saveexec_b64 s[0:1], vcc
	s_cbranch_execz .LBB19_6
; %bb.5:
	s_waitcnt lgkmcnt(0)
	v_cmp_lt_f32_e32 vcc, v7, v9
	v_cndmask_b32_e32 v7, v7, v9, vcc
	v_lshrrev_b32_e32 v9, 4, v0
	ds_write_b32 v9, v7
.LBB19_6:
	s_or_b64 exec, exec, s[0:1]
	s_and_b32 s0, 0xffff, s16
	s_lshr_b32 s0, s0, 6
	v_cmp_gt_u32_e32 vcc, s0, v0
	v_mov_b32_e32 v7, 0
	s_waitcnt lgkmcnt(0)
	s_barrier
	s_and_saveexec_b64 s[0:1], vcc
	s_cbranch_execnz .LBB19_10
; %bb.7:
	s_or_b64 exec, exec, s[0:1]
	v_cmp_gt_u32_e32 vcc, 64, v0
	s_and_saveexec_b64 s[0:1], vcc
	s_cbranch_execnz .LBB19_11
.LBB19_8:
	s_or_b64 exec, exec, s[0:1]
	v_cmp_eq_u32_e32 vcc, 0, v0
	s_and_saveexec_b64 s[0:1], vcc
	s_cbranch_execnz .LBB19_12
.LBB19_9:
	s_endpgm
.LBB19_10:
	v_lshlrev_b32_e32 v7, 2, v8
	ds_read_b32 v7, v7
	s_or_b64 exec, exec, s[0:1]
	v_cmp_gt_u32_e32 vcc, 64, v0
	s_and_saveexec_b64 s[0:1], vcc
	s_cbranch_execz .LBB19_8
.LBB19_11:
	s_waitcnt lgkmcnt(0)
	ds_bpermute_b32 v2, v2, v7
	s_waitcnt lgkmcnt(0)
	v_cmp_lt_f32_e32 vcc, v7, v2
	v_cndmask_b32_e32 v2, v7, v2, vcc
	ds_bpermute_b32 v1, v1, v2
	s_waitcnt lgkmcnt(0)
	v_cmp_lt_f32_e32 vcc, v2, v1
	v_cndmask_b32_e32 v1, v2, v1, vcc
	;; [unrolled: 4-line block ×6, first 2 shown]
	s_or_b64 exec, exec, s[0:1]
	v_cmp_eq_u32_e32 vcc, 0, v0
	s_and_saveexec_b64 s[0:1], vcc
	s_cbranch_execz .LBB19_9
.LBB19_12:
	s_lshl_b64 s[0:1], s[6:7], 2
	s_add_u32 s0, s8, s0
	s_addc_u32 s1, s9, s1
	v_mov_b32_e32 v0, 0
	s_waitcnt lgkmcnt(0)
	global_store_dword v0, v7, s[0:1]
	s_endpgm
	.section	.rodata,"a",@progbits
	.p2align	6, 0x0
	.amdhsa_kernel _ZN2at6native12_GLOBAL__N_122pdist_kernel_cuda_implIfNS1_5distsIfE3infEEEvPT_PKS6_llS6_dd
		.amdhsa_group_segment_fixed_size 1024
		.amdhsa_private_segment_fixed_size 0
		.amdhsa_kernarg_size 312
		.amdhsa_user_sgpr_count 6
		.amdhsa_user_sgpr_private_segment_buffer 1
		.amdhsa_user_sgpr_dispatch_ptr 0
		.amdhsa_user_sgpr_queue_ptr 0
		.amdhsa_user_sgpr_kernarg_segment_ptr 1
		.amdhsa_user_sgpr_dispatch_id 0
		.amdhsa_user_sgpr_flat_scratch_init 0
		.amdhsa_user_sgpr_private_segment_size 0
		.amdhsa_uses_dynamic_stack 0
		.amdhsa_system_sgpr_private_segment_wavefront_offset 0
		.amdhsa_system_sgpr_workgroup_id_x 1
		.amdhsa_system_sgpr_workgroup_id_y 0
		.amdhsa_system_sgpr_workgroup_id_z 0
		.amdhsa_system_sgpr_workgroup_info 0
		.amdhsa_system_vgpr_workitem_id 0
		.amdhsa_next_free_vgpr 16
		.amdhsa_next_free_sgpr 24
		.amdhsa_reserve_vcc 1
		.amdhsa_reserve_flat_scratch 0
		.amdhsa_float_round_mode_32 0
		.amdhsa_float_round_mode_16_64 0
		.amdhsa_float_denorm_mode_32 3
		.amdhsa_float_denorm_mode_16_64 3
		.amdhsa_dx10_clamp 1
		.amdhsa_ieee_mode 1
		.amdhsa_fp16_overflow 0
		.amdhsa_exception_fp_ieee_invalid_op 0
		.amdhsa_exception_fp_denorm_src 0
		.amdhsa_exception_fp_ieee_div_zero 0
		.amdhsa_exception_fp_ieee_overflow 0
		.amdhsa_exception_fp_ieee_underflow 0
		.amdhsa_exception_fp_ieee_inexact 0
		.amdhsa_exception_int_div_zero 0
	.end_amdhsa_kernel
	.section	.text._ZN2at6native12_GLOBAL__N_122pdist_kernel_cuda_implIfNS1_5distsIfE3infEEEvPT_PKS6_llS6_dd,"axG",@progbits,_ZN2at6native12_GLOBAL__N_122pdist_kernel_cuda_implIfNS1_5distsIfE3infEEEvPT_PKS6_llS6_dd,comdat
.Lfunc_end19:
	.size	_ZN2at6native12_GLOBAL__N_122pdist_kernel_cuda_implIfNS1_5distsIfE3infEEEvPT_PKS6_llS6_dd, .Lfunc_end19-_ZN2at6native12_GLOBAL__N_122pdist_kernel_cuda_implIfNS1_5distsIfE3infEEEvPT_PKS6_llS6_dd
                                        ; -- End function
	.set _ZN2at6native12_GLOBAL__N_122pdist_kernel_cuda_implIfNS1_5distsIfE3infEEEvPT_PKS6_llS6_dd.num_vgpr, 16
	.set _ZN2at6native12_GLOBAL__N_122pdist_kernel_cuda_implIfNS1_5distsIfE3infEEEvPT_PKS6_llS6_dd.num_agpr, 0
	.set _ZN2at6native12_GLOBAL__N_122pdist_kernel_cuda_implIfNS1_5distsIfE3infEEEvPT_PKS6_llS6_dd.numbered_sgpr, 24
	.set _ZN2at6native12_GLOBAL__N_122pdist_kernel_cuda_implIfNS1_5distsIfE3infEEEvPT_PKS6_llS6_dd.num_named_barrier, 0
	.set _ZN2at6native12_GLOBAL__N_122pdist_kernel_cuda_implIfNS1_5distsIfE3infEEEvPT_PKS6_llS6_dd.private_seg_size, 0
	.set _ZN2at6native12_GLOBAL__N_122pdist_kernel_cuda_implIfNS1_5distsIfE3infEEEvPT_PKS6_llS6_dd.uses_vcc, 1
	.set _ZN2at6native12_GLOBAL__N_122pdist_kernel_cuda_implIfNS1_5distsIfE3infEEEvPT_PKS6_llS6_dd.uses_flat_scratch, 0
	.set _ZN2at6native12_GLOBAL__N_122pdist_kernel_cuda_implIfNS1_5distsIfE3infEEEvPT_PKS6_llS6_dd.has_dyn_sized_stack, 0
	.set _ZN2at6native12_GLOBAL__N_122pdist_kernel_cuda_implIfNS1_5distsIfE3infEEEvPT_PKS6_llS6_dd.has_recursion, 0
	.set _ZN2at6native12_GLOBAL__N_122pdist_kernel_cuda_implIfNS1_5distsIfE3infEEEvPT_PKS6_llS6_dd.has_indirect_call, 0
	.section	.AMDGPU.csdata,"",@progbits
; Kernel info:
; codeLenInByte = 1204
; TotalNumSgprs: 28
; NumVgprs: 16
; ScratchSize: 0
; MemoryBound: 0
; FloatMode: 240
; IeeeMode: 1
; LDSByteSize: 1024 bytes/workgroup (compile time only)
; SGPRBlocks: 3
; VGPRBlocks: 3
; NumSGPRsForWavesPerEU: 28
; NumVGPRsForWavesPerEU: 16
; Occupancy: 10
; WaveLimiterHint : 0
; COMPUTE_PGM_RSRC2:SCRATCH_EN: 0
; COMPUTE_PGM_RSRC2:USER_SGPR: 6
; COMPUTE_PGM_RSRC2:TRAP_HANDLER: 0
; COMPUTE_PGM_RSRC2:TGID_X_EN: 1
; COMPUTE_PGM_RSRC2:TGID_Y_EN: 0
; COMPUTE_PGM_RSRC2:TGID_Z_EN: 0
; COMPUTE_PGM_RSRC2:TIDIG_COMP_CNT: 0
	.section	.text._ZN2at6native12_GLOBAL__N_131pdist_backward_kernel_cuda_implIdNS1_5distsIdE1pEEEvPT_PKS6_S9_S9_llllS6_dd,"axG",@progbits,_ZN2at6native12_GLOBAL__N_131pdist_backward_kernel_cuda_implIdNS1_5distsIdE1pEEEvPT_PKS6_S9_S9_llllS6_dd,comdat
	.globl	_ZN2at6native12_GLOBAL__N_131pdist_backward_kernel_cuda_implIdNS1_5distsIdE1pEEEvPT_PKS6_S9_S9_llllS6_dd ; -- Begin function _ZN2at6native12_GLOBAL__N_131pdist_backward_kernel_cuda_implIdNS1_5distsIdE1pEEEvPT_PKS6_S9_S9_llllS6_dd
	.p2align	8
	.type	_ZN2at6native12_GLOBAL__N_131pdist_backward_kernel_cuda_implIdNS1_5distsIdE1pEEEvPT_PKS6_S9_S9_llllS6_dd,@function
_ZN2at6native12_GLOBAL__N_131pdist_backward_kernel_cuda_implIdNS1_5distsIdE1pEEEvPT_PKS6_S9_S9_llllS6_dd: ; @_ZN2at6native12_GLOBAL__N_131pdist_backward_kernel_cuda_implIdNS1_5distsIdE1pEEEvPT_PKS6_S9_S9_llllS6_dd
; %bb.0:
	s_load_dword s0, s[4:5], 0x64
	s_load_dwordx16 s[8:23], s[4:5], 0x0
	s_add_u32 s2, s4, 0x58
	v_mov_b32_e32 v2, v0
	s_addc_u32 s3, s5, 0
	v_mov_b32_e32 v3, 0
	s_waitcnt lgkmcnt(0)
	s_and_b32 s1, s0, 0xffff
	v_mov_b32_e32 v0, s6
	v_mad_u64_u32 v[2:3], s[24:25], s1, v0, v[2:3]
	v_cmp_gt_i64_e32 vcc, s[22:23], v[2:3]
	s_and_saveexec_b64 s[22:23], vcc
	s_cbranch_execz .LBB20_6
; %bb.1:
	s_lshr_b32 s33, s0, 16
	s_mul_i32 s7, s7, s33
	v_add_u32_e32 v4, s7, v1
	v_ashrrev_i32_e32 v5, 31, v4
	v_cmp_gt_i64_e32 vcc, s[20:21], v[4:5]
	s_and_b64 exec, exec, vcc
	s_cbranch_execz .LBB20_6
; %bb.2:
	v_lshlrev_b64 v[0:1], 3, v[2:3]
	v_mov_b32_e32 v6, s15
	v_add_co_u32_e32 v0, vcc, s14, v0
	v_addc_co_u32_e32 v1, vcc, v6, v1, vcc
	global_load_dwordx2 v[8:9], v[0:1], off
	s_load_dwordx4 s[24:27], s[4:5], 0x40
	s_load_dwordx2 s[0:1], s[4:5], 0x50
	v_mov_b32_e32 v26, 0x3ff00000
	s_mov_b32 s14, 0x55555555
	s_mov_b32 s15, 0x3fe55555
	s_waitcnt lgkmcnt(0)
	v_add_f64 v[0:1], s[24:25], -1.0
	s_mov_b32 s22, 0x4222de17
	s_mov_b32 s23, 0x3fbdee67
	;; [unrolled: 1-line block ×24, first 2 shown]
	s_movk_i32 s80, 0x204
	s_mov_b32 s53, 0xbfe62e42
	s_mov_b32 s52, s48
	;; [unrolled: 1-line block ×5, first 2 shown]
	v_mov_b32_e32 v45, s11
	s_mov_b32 s57, 0x3e5ade15
	s_mov_b32 s4, 0
	;; [unrolled: 1-line block ×19, first 2 shown]
	s_lshl_b64 s[6:7], s[20:21], 3
	v_lshlrev_b64 v[4:5], 3, v[4:5]
	s_mov_b32 s74, 0
	s_mov_b32 s76, 0
	;; [unrolled: 1-line block ×6, first 2 shown]
	s_waitcnt vmcnt(0)
	v_cmp_neq_f64_e32 vcc, 1.0, v[8:9]
	v_cndmask_b32_e32 v7, v26, v1, vcc
	v_cndmask_b32_e32 v6, 0, v0, vcc
	v_cmp_neq_f64_e32 vcc, 0, v[6:7]
	v_cndmask_b32_e32 v17, v26, v9, vcc
	v_cndmask_b32_e32 v16, 0, v8, vcc
	v_frexp_mant_f64_e64 v[0:1], |v[16:17]|
	v_cmp_gt_f64_e32 vcc, s[14:15], v[0:1]
	v_cndmask_b32_e64 v10, 0, 1, vcc
	v_ldexp_f64 v[0:1], v[0:1], v10
	v_add_f64 v[10:11], v[0:1], 1.0
	v_add_f64 v[18:19], v[0:1], -1.0
	v_rcp_f64_e32 v[12:13], v[10:11]
	v_add_f64 v[20:21], v[10:11], -1.0
	v_add_f64 v[0:1], v[0:1], -v[20:21]
	v_fma_f64 v[14:15], -v[10:11], v[12:13], 1.0
	v_fma_f64 v[12:13], v[14:15], v[12:13], v[12:13]
	v_fma_f64 v[14:15], -v[10:11], v[12:13], 1.0
	v_fma_f64 v[12:13], v[14:15], v[12:13], v[12:13]
	v_mul_f64 v[14:15], v[18:19], v[12:13]
	v_mul_f64 v[22:23], v[10:11], v[14:15]
	v_fma_f64 v[10:11], v[14:15], v[10:11], -v[22:23]
	v_fma_f64 v[0:1], v[14:15], v[0:1], v[10:11]
	v_add_f64 v[10:11], v[22:23], v[0:1]
	v_add_f64 v[20:21], v[18:19], -v[10:11]
	v_add_f64 v[22:23], v[10:11], -v[22:23]
	;; [unrolled: 1-line block ×5, first 2 shown]
	v_add_f64 v[0:1], v[0:1], v[10:11]
	v_add_f64 v[0:1], v[20:21], v[0:1]
	v_mul_f64 v[0:1], v[12:13], v[0:1]
	v_add_f64 v[10:11], v[14:15], v[0:1]
	v_add_f64 v[12:13], v[10:11], -v[14:15]
	v_mul_f64 v[14:15], v[10:11], v[10:11]
	v_add_f64 v[12:13], v[0:1], -v[12:13]
	v_fma_f64 v[0:1], v[10:11], v[10:11], -v[14:15]
	v_add_f64 v[18:19], v[12:13], v[12:13]
	v_fma_f64 v[18:19], v[10:11], v[18:19], v[0:1]
	v_mov_b32_e32 v0, 0x968915a9
	v_mov_b32_e32 v1, 0x3fba6564
	v_add_f64 v[20:21], v[14:15], v[18:19]
	v_fma_f64 v[22:23], v[20:21], s[22:23], v[0:1]
	v_add_f64 v[14:15], v[20:21], -v[14:15]
	v_mul_f64 v[29:30], v[10:11], v[20:21]
	v_fma_f64 v[22:23], v[20:21], v[22:23], s[28:29]
	v_add_f64 v[14:15], v[18:19], -v[14:15]
	v_fma_f64 v[22:23], v[20:21], v[22:23], s[30:31]
	v_fma_f64 v[22:23], v[20:21], v[22:23], s[34:35]
	;; [unrolled: 1-line block ×6, first 2 shown]
	v_mul_f64 v[24:25], v[20:21], v[22:23]
	v_fma_f64 v[18:19], v[20:21], v[22:23], -v[24:25]
	v_fma_f64 v[18:19], v[14:15], v[22:23], v[18:19]
	v_add_f64 v[22:23], v[24:25], v[18:19]
	v_add_f64 v[27:28], v[22:23], s[14:15]
	v_add_f64 v[24:25], v[22:23], -v[24:25]
	v_add_f64 v[31:32], v[27:28], s[44:45]
	v_add_f64 v[18:19], v[18:19], -v[24:25]
	v_fma_f64 v[24:25], v[20:21], v[10:11], -v[29:30]
	s_movk_i32 s44, 0xffe0
	v_add_f64 v[22:23], v[22:23], -v[31:32]
	v_add_f64 v[18:19], v[18:19], s[46:47]
	v_fma_f64 v[20:21], v[20:21], v[12:13], v[24:25]
	v_ldexp_f64 v[12:13], v[12:13], 1
	v_add_f64 v[18:19], v[18:19], v[22:23]
	v_fma_f64 v[14:15], v[14:15], v[10:11], v[20:21]
	v_ldexp_f64 v[10:11], v[10:11], 1
	v_add_f64 v[20:21], v[27:28], v[18:19]
	v_add_f64 v[22:23], v[29:30], v[14:15]
	v_add_f64 v[24:25], v[27:28], -v[20:21]
	v_mul_f64 v[27:28], v[22:23], v[20:21]
	v_add_f64 v[29:30], v[22:23], -v[29:30]
	v_add_f64 v[18:19], v[18:19], v[24:25]
	v_fma_f64 v[24:25], v[22:23], v[20:21], -v[27:28]
	v_add_f64 v[14:15], v[14:15], -v[29:30]
	v_fma_f64 v[18:19], v[22:23], v[18:19], v[24:25]
	v_fma_f64 v[14:15], v[14:15], v[20:21], v[18:19]
	v_frexp_exp_i32_f64_e32 v20, v[16:17]
	v_add_f64 v[18:19], v[27:28], v[14:15]
	v_subbrev_co_u32_e32 v24, vcc, 0, v20, vcc
	v_cvt_f64_i32_e32 v[24:25], v24
	v_add_f64 v[20:21], v[10:11], v[18:19]
	v_add_f64 v[22:23], v[18:19], -v[27:28]
	v_mul_f64 v[27:28], v[24:25], s[48:49]
	v_add_f64 v[10:11], v[20:21], -v[10:11]
	v_add_f64 v[14:15], v[14:15], -v[22:23]
	v_fma_f64 v[22:23], v[24:25], s[48:49], -v[27:28]
	v_add_f64 v[10:11], v[18:19], -v[10:11]
	v_add_f64 v[12:13], v[12:13], v[14:15]
	v_fma_f64 v[14:15], v[24:25], s[50:51], v[22:23]
	v_lshlrev_b64 v[24:25], 1, v[2:3]
	v_cvt_f64_u32_e32 v[29:30], v25
	v_cvt_f64_u32_e32 v[24:25], v24
	v_add_f64 v[10:11], v[12:13], v[10:11]
	v_add_f64 v[12:13], v[27:28], v[14:15]
	v_ldexp_f64 v[29:30], v[29:30], 32
	v_add_f64 v[18:19], v[20:21], v[10:11]
	v_add_f64 v[27:28], v[12:13], -v[27:28]
	v_add_f64 v[24:25], v[29:30], v[24:25]
	v_mul_lo_u32 v30, v3, s16
	v_mov_b32_e32 v29, s19
	v_add_f64 v[22:23], v[12:13], v[18:19]
	v_add_f64 v[20:21], v[18:19], -v[20:21]
	v_add_f64 v[27:28], v[14:15], -v[27:28]
	;; [unrolled: 1-line block ×7, first 2 shown]
	s_mov_b32 s0, 0
	s_brev_b32 s1, 8
	v_add_f64 v[20:21], v[27:28], v[10:11]
	v_mov_b32_e32 v25, 0xffffff80
	v_mov_b32_e32 v24, 0x260
	v_add_f64 v[12:13], v[12:13], -v[33:34]
	v_mul_lo_u32 v31, v2, s17
	v_cmp_gt_f64_e32 vcc, s[0:1], v[18:19]
	v_add_f64 v[12:13], v[14:15], v[12:13]
	v_mov_b32_e32 v14, 0x100
	v_cndmask_b32_e32 v14, 0, v14, vcc
	v_ldexp_f64 v[14:15], v[18:19], v14
	v_add_f64 v[18:19], v[20:21], -v[27:28]
	v_cndmask_b32_e32 v25, 0, v25, vcc
	v_add_f64 v[32:33], v[20:21], v[12:13]
	v_rsq_f64_e32 v[34:35], v[14:15]
	v_add_f64 v[12:13], v[20:21], -v[18:19]
	v_add_f64 v[10:11], v[10:11], -v[18:19]
	v_cmp_class_f64_e32 vcc, v[14:15], v24
	v_add_f64 v[20:21], v[22:23], v[32:33]
	v_add_f64 v[18:19], v[27:28], -v[12:13]
	v_mad_u64_u32 v[12:13], s[0:1], v2, s16, 0
	s_mov_b32 s16, 0x652b82fe
	v_add_f64 v[22:23], v[20:21], -v[22:23]
	s_mov_b32 s17, 0x3ff71547
	v_add3_u32 v13, v13, v31, v30
	v_mul_f64 v[27:28], v[14:15], v[34:35]
	v_mul_f64 v[34:35], v[34:35], 0.5
	v_add_f64 v[10:11], v[10:11], v[18:19]
	v_mul_f64 v[30:31], v[6:7], 0.5
	v_add_f64 v[18:19], v[32:33], -v[22:23]
	v_fma_f64 v[22:23], -v[34:35], v[27:28], 0.5
	v_trunc_f64_e32 v[49:50], v[30:31]
	v_add_f64 v[32:33], v[10:11], v[18:19]
	v_mov_b32_e32 v10, 0xfca7ab0c
	v_mov_b32_e32 v11, 0x3e928af3
	v_fma_f64 v[27:28], v[27:28], v[22:23], v[27:28]
	v_fma_f64 v[22:23], v[34:35], v[22:23], v[34:35]
	v_add_f64 v[36:37], v[20:21], v[32:33]
	v_fma_f64 v[34:35], -v[27:28], v[27:28], v[14:15]
	v_add_f64 v[20:21], v[36:37], -v[20:21]
	v_mul_f64 v[18:19], v[6:7], v[36:37]
	v_fma_f64 v[27:28], v[34:35], v[22:23], v[27:28]
	v_mov_b32_e32 v34, s9
	v_add_f64 v[20:21], v[32:33], -v[20:21]
	v_fma_f64 v[32:33], v[6:7], v[36:37], -v[18:19]
	v_cmp_class_f64_e64 s[0:1], v[18:19], s80
	v_fma_f64 v[35:36], -v[27:28], v[27:28], v[14:15]
	v_fma_f64 v[20:21], v[6:7], v[20:21], v[32:33]
	v_mov_b32_e32 v33, s13
	v_mov_b32_e32 v32, s13
	v_fma_f64 v[37:38], v[35:36], v[22:23], v[27:28]
	v_mov_b32_e32 v28, 0x7ff00000
	v_mov_b32_e32 v36, s9
	s_brev_b32 s9, -2
	v_mov_b32_e32 v35, s7
	v_add_f64 v[22:23], v[18:19], v[20:21]
	v_mov_b32_e32 v27, 0x7ff80000
	v_ldexp_f64 v[37:38], v[37:38], v25
	v_cndmask_b32_e64 v25, v23, v19, s[0:1]
	v_cndmask_b32_e64 v24, v22, v18, s[0:1]
	v_mul_f64 v[39:40], v[24:25], s[16:17]
	v_cndmask_b32_e32 v15, v38, v15, vcc
	v_cndmask_b32_e32 v14, v37, v14, vcc
	v_add_f64 v[14:15], s[26:27], -v[14:15]
	s_load_dword s0, s[2:3], 0x4
	v_cmp_neq_f64_e64 s[2:3], v[49:50], v[30:31]
	v_add_f64 v[18:19], v[22:23], -v[18:19]
	s_mov_b64 s[26:27], 0
	v_rndne_f64_e32 v[37:38], v[39:40]
	v_trunc_f64_e32 v[41:42], v[14:15]
	v_lshlrev_b64 v[14:15], 3, v[12:13]
	v_add_f64 v[12:13], s[24:25], -2.0
	v_add_co_u32_e32 v14, vcc, s10, v14
	v_fma_f64 v[39:40], v[37:38], s[52:53], v[24:25]
	v_addc_co_u32_e32 v15, vcc, v45, v15, vcc
	v_ldexp_f64 v[43:44], v[41:42], s44
	s_waitcnt lgkmcnt(0)
	s_mul_i32 s24, s0, s33
	v_trunc_f64_e32 v[45:46], v[6:7]
	v_cmp_neq_f64_e64 s[0:1], v[6:7], |v[6:7]|
	v_cmp_lt_f64_e64 s[10:11], |v[16:17]|, 1.0
	v_fma_f64 v[39:40], v[37:38], s[54:55], v[39:40]
	v_cmp_gt_f64_e32 vcc, 0, v[6:7]
	global_load_dwordx2 v[14:15], v[14:15], off
	v_floor_f64_e32 v[43:44], v[43:44]
	v_add_f64 v[18:19], v[20:21], -v[18:19]
	s_ashr_i32 s25, s24, 31
	s_xor_b64 s[10:11], s[0:1], s[10:11]
	v_fma_f64 v[47:48], v[39:40], s[56:57], v[10:11]
	v_cndmask_b32_e64 v51, v28, 0, vcc
	v_cmp_eq_f64_e32 vcc, v[45:46], v[6:7]
	v_cmp_neq_f64_e64 s[0:1], 0, v[8:9]
	v_fma_f64 v[8:9], v[43:44], s[4:5], v[41:42]
	v_cmp_neq_f64_e64 s[4:5], |v[16:17]|, 1.0
	v_cndmask_b32_e64 v30, v28, 0, s[10:11]
	v_cvt_i32_f64_e32 v42, v[43:44]
	v_fma_f64 v[45:46], v[39:40], v[47:48], s[58:59]
	s_and_b64 s[2:3], vcc, s[2:3]
	v_cndmask_b32_e64 v41, 0, v17, s[2:3]
	v_bfi_b32 v49, s9, v51, v41
	v_cndmask_b32_e64 v47, v26, v30, s[4:5]
	v_cvt_u32_f64_e32 v41, v[8:9]
	v_cndmask_b32_e64 v48, v26, v17, s[2:3]
	v_fma_f64 v[30:31], v[39:40], v[45:46], s[60:61]
	v_mul_lo_u32 v50, s20, v42
	v_mad_u64_u32 v[43:44], s[2:3], s18, v41, 0
	v_mul_lo_u32 v51, s18, v42
	v_mul_lo_u32 v52, s21, v41
	;; [unrolled: 1-line block ×3, first 2 shown]
	v_cmp_nlt_f64_e64 s[4:5], s[74:75], v[24:25]
	v_fma_f64 v[8:9], v[39:40], v[30:31], s[62:63]
	v_mad_u64_u32 v[30:31], s[2:3], s20, v41, 0
	v_add_co_u32_e64 v54, s[2:3], 1, v41
	v_addc_co_u32_e64 v55, s[2:3], 0, v42, s[2:3]
	v_sub_co_u32_e64 v56, s[2:3], s18, v41
	v_fma_f64 v[8:9], v[39:40], v[8:9], s[64:65]
	v_subb_co_u32_e64 v29, s[2:3], v29, v42, s[2:3]
	v_mad_u64_u32 v[45:46], s[2:3], v54, v41, 0
	v_add_co_u32_e64 v56, s[2:3], -2, v56
	v_addc_co_u32_e64 v29, s[2:3], -1, v29, s[2:3]
	v_fma_f64 v[8:9], v[39:40], v[8:9], s[66:67]
	v_mul_lo_u32 v60, v29, s18
	v_add3_u32 v31, v31, v50, v52
	v_add3_u32 v29, v44, v51, v53
	v_sub_co_u32_e64 v50, s[2:3], v2, v43
	v_subb_co_u32_e64 v51, s[2:3], v3, v29, s[2:3]
	v_fma_f64 v[8:9], v[39:40], v[8:9], s[68:69]
	v_mul_lo_u32 v57, v55, v41
	v_mul_lo_u32 v58, v54, v42
	;; [unrolled: 1-line block ×3, first 2 shown]
	v_add3_u32 v29, v46, v58, v57
	v_fma_f64 v[2:3], v[39:40], v[8:9], s[70:71]
	v_lshlrev_b64 v[8:9], 3, v[30:31]
	v_lshrrev_b32_e32 v30, 31, v29
	v_add_co_u32_e64 v43, s[2:3], v45, v30
	v_addc_co_u32_e64 v44, s[2:3], 0, v29, s[2:3]
	v_add_co_u32_e64 v29, s[2:3], s12, v8
	v_fma_f64 v[45:46], v[39:40], v[2:3], s[72:73]
	v_addc_co_u32_e64 v30, s[2:3], v33, v9, s[2:3]
	v_add_co_u32_e64 v2, s[2:3], s6, v29
	v_addc_co_u32_e64 v3, s[2:3], v30, v35, s[2:3]
	v_ashrrev_i64 v[43:44], 1, v[43:44]
	v_fma_f64 v[45:46], v[39:40], v[45:46], 1.0
	v_add_co_u32_e64 v8, s[2:3], v29, v4
	v_addc_co_u32_e64 v9, s[2:3], v30, v5, s[2:3]
	v_add_co_u32_e64 v31, s[2:3], v43, v50
	v_cvt_i32_f64_e32 v35, v[37:38]
	v_fma_f64 v[39:40], v[39:40], v[45:46], 1.0
	v_addc_co_u32_e64 v33, s[2:3], v44, v51, s[2:3]
	v_add_co_u32_e64 v43, s[2:3], v54, v31
	v_addc_co_u32_e64 v44, s[2:3], v55, v33, s[2:3]
	v_mad_u64_u32 v[22:23], s[2:3], v31, s18, v[41:42]
	v_ldexp_f64 v[37:38], v[39:40], v35
	v_cmp_neq_f64_e64 s[2:3], |v[24:25]|, s[78:79]
	v_cmp_ngt_f64_e64 s[6:7], s[76:77], v[24:25]
	v_mul_lo_u32 v31, v31, s19
	v_mul_lo_u32 v33, v33, s18
	v_mul_lo_u32 v35, v44, s20
	v_mul_lo_u32 v39, v43, s21
	v_mad_u64_u32 v[20:21], s[10:11], v43, s20, 0
	v_cndmask_b32_e64 v38, v28, v38, s[4:5]
	v_cndmask_b32_e64 v19, 0, v19, s[2:3]
	;; [unrolled: 1-line block ×3, first 2 shown]
	s_and_b64 s[2:3], s[6:7], s[4:5]
	v_cndmask_b32_e64 v38, 0, v38, s[6:7]
	v_cndmask_b32_e64 v37, 0, v37, s[2:3]
	v_fma_f64 v[18:19], v[37:38], v[18:19], v[37:38]
	v_cmp_class_f64_e64 s[2:3], v[37:38], s80
	v_add3_u32 v31, v33, v23, v31
	v_add3_u32 v21, v21, v39, v35
	v_mul_lo_u32 v35, v31, s20
	v_mad_u64_u32 v[24:25], s[10:11], v56, s18, v[43:44]
	v_mul_lo_u32 v33, v22, s21
	v_mad_u64_u32 v[22:23], s[4:5], v22, s20, 0
	v_cndmask_b32_e64 v31, v18, v37, s[2:3]
	v_cndmask_b32_e64 v18, v19, v38, s[2:3]
	v_bfi_b32 v37, s9, v18, v48
	v_cndmask_b32_e32 v38, v27, v37, vcc
	v_cndmask_b32_e32 v39, 0, v31, vcc
	v_cmp_gt_f64_e32 vcc, 0, v[16:17]
	v_add3_u32 v25, v60, v25, v59
	v_mul_lo_u32 v40, s21, v24
	v_mad_u64_u32 v[18:19], s[2:3], s20, v24, 0
	v_mul_lo_u32 v24, s20, v25
	v_cmp_class_f64_e64 s[2:3], v[16:17], s80
	v_lshlrev_b64 v[20:21], 3, v[20:21]
	v_cndmask_b32_e32 v25, v31, v39, vcc
	v_cndmask_b32_e32 v31, v37, v38, vcc
	v_cmp_class_f64_e64 vcc, v[6:7], s80
	v_add3_u32 v23, v23, v33, v35
	v_add3_u32 v19, v19, v24, v40
	v_lshlrev_b64 v[18:19], 3, v[18:19]
	v_cndmask_b32_e32 v37, v31, v47, vcc
	v_add_co_u32_e64 v31, s[4:5], s12, v20
	v_addc_co_u32_e64 v32, s[4:5], v32, v21, s[4:5]
	v_lshlrev_b64 v[20:21], 3, v[22:23]
	v_cndmask_b32_e64 v22, v37, v49, s[2:3]
	s_or_b64 s[2:3], s[2:3], vcc
	v_cmp_o_f64_e32 vcc, v[16:17], v[6:7]
	v_cndmask_b32_e64 v23, v25, 0, s[2:3]
	v_add_co_u32_e64 v33, s[2:3], s8, v20
	v_addc_co_u32_e64 v34, s[2:3], v34, v21, s[2:3]
	v_add_co_u32_e64 v35, s[2:3], s8, v18
	v_addc_co_u32_e64 v36, s[2:3], v36, v19, s[2:3]
	v_cndmask_b32_e32 v6, 0, v23, vcc
	v_cndmask_b32_e32 v7, v27, v22, vcc
	s_lshl_b64 s[8:9], s[24:25], 3
	s_branch .LBB20_4
.LBB20_3:                               ;   in Loop: Header=BB20_4 Depth=1
	s_or_b64 exec, exec, s[10:11]
	v_add_co_u32_e32 v18, vcc, v35, v4
	v_addc_co_u32_e32 v19, vcc, v36, v5, vcc
	v_add_co_u32_e32 v20, vcc, v33, v4
	v_addc_co_u32_e32 v21, vcc, v34, v5, vcc
	global_store_dwordx2 v[20:21], v[16:17], off
	v_mov_b32_e32 v20, s9
	v_add_co_u32_e32 v8, vcc, s8, v8
	v_addc_co_u32_e32 v9, vcc, v9, v20, vcc
	v_cmp_ge_u64_e32 vcc, v[8:9], v[2:3]
	v_xor_b32_e32 v17, 0x80000000, v17
	s_or_b64 s[26:27], vcc, s[26:27]
	v_add_co_u32_e32 v4, vcc, s8, v4
	v_addc_co_u32_e32 v5, vcc, v5, v20, vcc
	global_store_dwordx2 v[18:19], v[16:17], off
	s_andn2_b64 exec, exec, s[26:27]
	s_cbranch_execz .LBB20_6
.LBB20_4:                               ; =>This Inner Loop Header: Depth=1
	v_mov_b32_e32 v16, 0
	v_mov_b32_e32 v17, 0
	s_and_saveexec_b64 s[10:11], s[0:1]
	s_cbranch_execz .LBB20_3
; %bb.5:                                ;   in Loop: Header=BB20_4 Depth=1
	v_add_co_u32_e32 v16, vcc, v31, v4
	v_addc_co_u32_e32 v17, vcc, v32, v5, vcc
	v_add_co_u32_e32 v18, vcc, v29, v4
	v_addc_co_u32_e32 v19, vcc, v30, v5, vcc
	global_load_dwordx2 v[18:19], v[18:19], off
	s_nop 0
	global_load_dwordx2 v[16:17], v[16:17], off
	s_mov_b32 s44, s14
	s_mov_b32 s52, s48
	;; [unrolled: 1-line block ×3, first 2 shown]
	s_waitcnt vmcnt(0)
	v_add_f64 v[16:17], v[18:19], -v[16:17]
	v_cmp_neq_f64_e64 vcc, |v[16:17]|, 1.0
	v_cndmask_b32_e32 v19, v26, v13, vcc
	v_cndmask_b32_e32 v18, 0, v12, vcc
	v_cmp_neq_f64_e32 vcc, 0, v[18:19]
	v_cmp_neq_f64_e64 s[12:13], v[18:19], |v[18:19]|
	v_cmp_gt_f64_e64 s[6:7], 0, v[18:19]
	v_cndmask_b32_e32 v21, v26, v17, vcc
	v_cndmask_b32_e32 v20, 0, v16, vcc
	v_frexp_mant_f64_e64 v[22:23], |v[20:21]|
	v_cmp_lt_f64_e64 s[18:19], |v[20:21]|, 1.0
	v_cmp_eq_f64_e64 s[20:21], |v[20:21]|, 0
	v_cmp_gt_f64_e32 vcc, s[14:15], v[22:23]
	s_xor_b64 s[6:7], s[6:7], s[20:21]
	v_cndmask_b32_e64 v24, 0, 1, vcc
	v_ldexp_f64 v[22:23], v[22:23], v24
	v_add_f64 v[24:25], v[22:23], 1.0
	v_add_f64 v[41:42], v[22:23], -1.0
	v_rcp_f64_e32 v[37:38], v[24:25]
	v_add_f64 v[43:44], v[24:25], -1.0
	v_add_f64 v[22:23], v[22:23], -v[43:44]
	v_fma_f64 v[39:40], -v[24:25], v[37:38], 1.0
	v_fma_f64 v[37:38], v[39:40], v[37:38], v[37:38]
	v_fma_f64 v[39:40], -v[24:25], v[37:38], 1.0
	v_fma_f64 v[37:38], v[39:40], v[37:38], v[37:38]
	v_mul_f64 v[39:40], v[41:42], v[37:38]
	v_mul_f64 v[45:46], v[24:25], v[39:40]
	v_fma_f64 v[24:25], v[39:40], v[24:25], -v[45:46]
	v_fma_f64 v[22:23], v[39:40], v[22:23], v[24:25]
	v_add_f64 v[24:25], v[45:46], v[22:23]
	v_add_f64 v[43:44], v[41:42], -v[24:25]
	v_add_f64 v[45:46], v[24:25], -v[45:46]
	;; [unrolled: 1-line block ×5, first 2 shown]
	v_add_f64 v[22:23], v[22:23], v[24:25]
	v_add_f64 v[22:23], v[43:44], v[22:23]
	v_mul_f64 v[22:23], v[37:38], v[22:23]
	v_add_f64 v[24:25], v[39:40], v[22:23]
	v_add_f64 v[37:38], v[24:25], -v[39:40]
	v_mul_f64 v[39:40], v[24:25], v[24:25]
	v_add_f64 v[22:23], v[22:23], -v[37:38]
	v_fma_f64 v[37:38], v[24:25], v[24:25], -v[39:40]
	v_add_f64 v[41:42], v[22:23], v[22:23]
	v_fma_f64 v[37:38], v[24:25], v[41:42], v[37:38]
	v_add_f64 v[41:42], v[39:40], v[37:38]
	v_fma_f64 v[43:44], v[41:42], s[22:23], v[0:1]
	v_add_f64 v[39:40], v[41:42], -v[39:40]
	v_mul_f64 v[49:50], v[24:25], v[41:42]
	v_fma_f64 v[43:44], v[41:42], v[43:44], s[28:29]
	v_add_f64 v[37:38], v[37:38], -v[39:40]
	v_fma_f64 v[43:44], v[41:42], v[43:44], s[30:31]
	v_fma_f64 v[43:44], v[41:42], v[43:44], s[34:35]
	;; [unrolled: 1-line block ×6, first 2 shown]
	v_mul_f64 v[45:46], v[41:42], v[43:44]
	v_fma_f64 v[39:40], v[41:42], v[43:44], -v[45:46]
	v_fma_f64 v[39:40], v[37:38], v[43:44], v[39:40]
	v_add_f64 v[43:44], v[45:46], v[39:40]
	v_add_f64 v[47:48], v[43:44], s[14:15]
	v_add_f64 v[45:46], v[43:44], -v[45:46]
	v_add_f64 v[51:52], v[47:48], s[44:45]
	v_add_f64 v[39:40], v[39:40], -v[45:46]
	v_fma_f64 v[45:46], v[41:42], v[24:25], -v[49:50]
	v_add_f64 v[43:44], v[43:44], -v[51:52]
	v_add_f64 v[39:40], v[39:40], s[46:47]
	v_fma_f64 v[41:42], v[41:42], v[22:23], v[45:46]
	v_ldexp_f64 v[22:23], v[22:23], 1
	v_add_f64 v[39:40], v[39:40], v[43:44]
	v_fma_f64 v[37:38], v[37:38], v[24:25], v[41:42]
	v_ldexp_f64 v[24:25], v[24:25], 1
	v_add_f64 v[41:42], v[47:48], v[39:40]
	v_add_f64 v[43:44], v[49:50], v[37:38]
	v_add_f64 v[45:46], v[47:48], -v[41:42]
	v_mul_f64 v[47:48], v[43:44], v[41:42]
	v_add_f64 v[49:50], v[43:44], -v[49:50]
	v_add_f64 v[39:40], v[39:40], v[45:46]
	v_fma_f64 v[45:46], v[43:44], v[41:42], -v[47:48]
	v_add_f64 v[37:38], v[37:38], -v[49:50]
	v_fma_f64 v[39:40], v[43:44], v[39:40], v[45:46]
	v_fma_f64 v[37:38], v[37:38], v[41:42], v[39:40]
	v_frexp_exp_i32_f64_e32 v41, v[20:21]
	v_add_f64 v[39:40], v[47:48], v[37:38]
	v_subbrev_co_u32_e32 v45, vcc, 0, v41, vcc
	v_cvt_f64_i32_e32 v[45:46], v45
	v_add_f64 v[41:42], v[24:25], v[39:40]
	v_add_f64 v[43:44], v[39:40], -v[47:48]
	v_mul_f64 v[47:48], v[45:46], s[48:49]
	v_add_f64 v[24:25], v[41:42], -v[24:25]
	v_add_f64 v[37:38], v[37:38], -v[43:44]
	v_fma_f64 v[43:44], v[45:46], s[48:49], -v[47:48]
	v_add_f64 v[24:25], v[39:40], -v[24:25]
	v_add_f64 v[22:23], v[22:23], v[37:38]
	v_fma_f64 v[37:38], v[45:46], s[50:51], v[43:44]
	v_add_f64 v[22:23], v[22:23], v[24:25]
	v_add_f64 v[24:25], v[47:48], v[37:38]
	;; [unrolled: 1-line block ×3, first 2 shown]
	v_add_f64 v[47:48], v[24:25], -v[47:48]
	v_add_f64 v[43:44], v[24:25], v[39:40]
	v_add_f64 v[41:42], v[39:40], -v[41:42]
	v_add_f64 v[37:38], v[37:38], -v[47:48]
	;; [unrolled: 1-line block ×6, first 2 shown]
	v_add_f64 v[41:42], v[37:38], v[22:23]
	v_add_f64 v[24:25], v[24:25], -v[49:50]
	v_add_f64 v[24:25], v[39:40], v[24:25]
	v_add_f64 v[39:40], v[41:42], -v[37:38]
	;; [unrolled: 2-line block ×3, first 2 shown]
	v_add_f64 v[22:23], v[22:23], -v[39:40]
	v_add_f64 v[45:46], v[43:44], v[24:25]
	v_add_f64 v[37:38], v[37:38], -v[41:42]
	v_add_f64 v[39:40], v[45:46], -v[43:44]
	v_add_f64 v[22:23], v[22:23], v[37:38]
	v_add_f64 v[24:25], v[24:25], -v[39:40]
	v_add_f64 v[22:23], v[22:23], v[24:25]
	v_add_f64 v[24:25], v[45:46], v[22:23]
	v_add_f64 v[37:38], v[24:25], -v[45:46]
	v_mul_f64 v[39:40], v[18:19], v[24:25]
	v_add_f64 v[22:23], v[22:23], -v[37:38]
	v_fma_f64 v[24:25], v[18:19], v[24:25], -v[39:40]
	v_cmp_class_f64_e64 vcc, v[39:40], s80
	v_fma_f64 v[24:25], v[18:19], v[22:23], v[24:25]
	v_add_f64 v[37:38], v[39:40], v[24:25]
	v_cndmask_b32_e32 v23, v38, v40, vcc
	v_cndmask_b32_e32 v22, v37, v39, vcc
	v_mul_f64 v[41:42], v[22:23], s[16:17]
	v_add_f64 v[37:38], v[37:38], -v[39:40]
	v_cmp_neq_f64_e64 vcc, |v[22:23]|, s[78:79]
	v_cmp_nlt_f64_e64 s[2:3], s[74:75], v[22:23]
	v_cmp_ngt_f64_e64 s[4:5], s[76:77], v[22:23]
	v_rndne_f64_e32 v[41:42], v[41:42]
	v_add_f64 v[24:25], v[24:25], -v[37:38]
	v_fma_f64 v[43:44], v[41:42], s[52:53], v[22:23]
	v_cndmask_b32_e32 v23, 0, v25, vcc
	v_cndmask_b32_e32 v22, 0, v24, vcc
	s_and_b64 vcc, s[4:5], s[2:3]
	v_fma_f64 v[43:44], v[41:42], s[54:55], v[43:44]
	v_cvt_i32_f64_e32 v41, v[41:42]
	v_fma_f64 v[45:46], v[43:44], s[56:57], v[10:11]
	v_fma_f64 v[45:46], v[43:44], v[45:46], s[58:59]
	v_fma_f64 v[45:46], v[43:44], v[45:46], s[60:61]
	v_fma_f64 v[45:46], v[43:44], v[45:46], s[62:63]
	v_fma_f64 v[45:46], v[43:44], v[45:46], s[64:65]
	v_fma_f64 v[45:46], v[43:44], v[45:46], s[66:67]
	v_fma_f64 v[45:46], v[43:44], v[45:46], s[68:69]
	v_fma_f64 v[45:46], v[43:44], v[45:46], s[70:71]
	v_fma_f64 v[45:46], v[43:44], v[45:46], s[72:73]
	v_fma_f64 v[45:46], v[43:44], v[45:46], 1.0
	v_fma_f64 v[43:44], v[43:44], v[45:46], 1.0
	v_ldexp_f64 v[39:40], v[43:44], v41
	v_cndmask_b32_e64 v37, v28, v40, s[2:3]
	s_xor_b64 s[2:3], s[12:13], s[18:19]
	v_cndmask_b32_e64 v25, 0, v37, s[4:5]
	v_cndmask_b32_e64 v37, v28, 0, s[2:3]
	v_cmp_neq_f64_e64 s[2:3], |v[20:21]|, 1.0
	v_cndmask_b32_e32 v24, 0, v39, vcc
	v_fma_f64 v[22:23], v[24:25], v[22:23], v[24:25]
	v_cmp_class_f64_e64 vcc, v[24:25], s80
	v_cmp_class_f64_e64 s[4:5], v[20:21], s80
	v_cndmask_b32_e64 v37, v26, v37, s[2:3]
	v_cmp_class_f64_e64 s[2:3], v[18:19], s80
	v_cndmask_b32_e32 v23, v23, v25, vcc
	v_and_b32_e32 v23, 0x7fffffff, v23
	v_cndmask_b32_e64 v25, v28, 0, s[6:7]
	v_cndmask_b32_e32 v22, v22, v24, vcc
	s_or_b64 vcc, s[20:21], s[4:5]
	v_cndmask_b32_e64 v23, v23, v37, s[2:3]
	v_cndmask_b32_e32 v23, v23, v25, vcc
	s_or_b64 s[2:3], vcc, s[2:3]
	v_cmp_o_f64_e64 vcc, |v[20:21]|, v[18:19]
	v_cndmask_b32_e64 v22, v22, 0, s[2:3]
	v_cndmask_b32_e32 v18, 0, v22, vcc
	v_cndmask_b32_e32 v19, v27, v23, vcc
	v_mul_f64 v[16:17], v[16:17], v[18:19]
	v_mul_f64 v[16:17], v[14:15], v[16:17]
	v_div_scale_f64 v[18:19], s[2:3], v[6:7], v[6:7], v[16:17]
	v_div_scale_f64 v[24:25], vcc, v[16:17], v[6:7], v[16:17]
	v_rcp_f64_e32 v[20:21], v[18:19]
	v_fma_f64 v[22:23], -v[18:19], v[20:21], 1.0
	v_fma_f64 v[20:21], v[20:21], v[22:23], v[20:21]
	v_fma_f64 v[22:23], -v[18:19], v[20:21], 1.0
	v_fma_f64 v[20:21], v[20:21], v[22:23], v[20:21]
	v_mul_f64 v[22:23], v[24:25], v[20:21]
	v_fma_f64 v[18:19], -v[18:19], v[22:23], v[24:25]
	v_div_fmas_f64 v[18:19], v[18:19], v[20:21], v[22:23]
	v_div_fixup_f64 v[16:17], v[18:19], v[6:7], v[16:17]
	s_branch .LBB20_3
.LBB20_6:
	s_endpgm
	.section	.rodata,"a",@progbits
	.p2align	6, 0x0
	.amdhsa_kernel _ZN2at6native12_GLOBAL__N_131pdist_backward_kernel_cuda_implIdNS1_5distsIdE1pEEEvPT_PKS6_S9_S9_llllS6_dd
		.amdhsa_group_segment_fixed_size 0
		.amdhsa_private_segment_fixed_size 0
		.amdhsa_kernarg_size 344
		.amdhsa_user_sgpr_count 6
		.amdhsa_user_sgpr_private_segment_buffer 1
		.amdhsa_user_sgpr_dispatch_ptr 0
		.amdhsa_user_sgpr_queue_ptr 0
		.amdhsa_user_sgpr_kernarg_segment_ptr 1
		.amdhsa_user_sgpr_dispatch_id 0
		.amdhsa_user_sgpr_flat_scratch_init 0
		.amdhsa_user_sgpr_private_segment_size 0
		.amdhsa_uses_dynamic_stack 0
		.amdhsa_system_sgpr_private_segment_wavefront_offset 0
		.amdhsa_system_sgpr_workgroup_id_x 1
		.amdhsa_system_sgpr_workgroup_id_y 1
		.amdhsa_system_sgpr_workgroup_id_z 0
		.amdhsa_system_sgpr_workgroup_info 0
		.amdhsa_system_vgpr_workitem_id 1
		.amdhsa_next_free_vgpr 61
		.amdhsa_next_free_sgpr 81
		.amdhsa_reserve_vcc 1
		.amdhsa_reserve_flat_scratch 0
		.amdhsa_float_round_mode_32 0
		.amdhsa_float_round_mode_16_64 0
		.amdhsa_float_denorm_mode_32 3
		.amdhsa_float_denorm_mode_16_64 3
		.amdhsa_dx10_clamp 1
		.amdhsa_ieee_mode 1
		.amdhsa_fp16_overflow 0
		.amdhsa_exception_fp_ieee_invalid_op 0
		.amdhsa_exception_fp_denorm_src 0
		.amdhsa_exception_fp_ieee_div_zero 0
		.amdhsa_exception_fp_ieee_overflow 0
		.amdhsa_exception_fp_ieee_underflow 0
		.amdhsa_exception_fp_ieee_inexact 0
		.amdhsa_exception_int_div_zero 0
	.end_amdhsa_kernel
	.section	.text._ZN2at6native12_GLOBAL__N_131pdist_backward_kernel_cuda_implIdNS1_5distsIdE1pEEEvPT_PKS6_S9_S9_llllS6_dd,"axG",@progbits,_ZN2at6native12_GLOBAL__N_131pdist_backward_kernel_cuda_implIdNS1_5distsIdE1pEEEvPT_PKS6_S9_S9_llllS6_dd,comdat
.Lfunc_end20:
	.size	_ZN2at6native12_GLOBAL__N_131pdist_backward_kernel_cuda_implIdNS1_5distsIdE1pEEEvPT_PKS6_S9_S9_llllS6_dd, .Lfunc_end20-_ZN2at6native12_GLOBAL__N_131pdist_backward_kernel_cuda_implIdNS1_5distsIdE1pEEEvPT_PKS6_S9_S9_llllS6_dd
                                        ; -- End function
	.set _ZN2at6native12_GLOBAL__N_131pdist_backward_kernel_cuda_implIdNS1_5distsIdE1pEEEvPT_PKS6_S9_S9_llllS6_dd.num_vgpr, 61
	.set _ZN2at6native12_GLOBAL__N_131pdist_backward_kernel_cuda_implIdNS1_5distsIdE1pEEEvPT_PKS6_S9_S9_llllS6_dd.num_agpr, 0
	.set _ZN2at6native12_GLOBAL__N_131pdist_backward_kernel_cuda_implIdNS1_5distsIdE1pEEEvPT_PKS6_S9_S9_llllS6_dd.numbered_sgpr, 81
	.set _ZN2at6native12_GLOBAL__N_131pdist_backward_kernel_cuda_implIdNS1_5distsIdE1pEEEvPT_PKS6_S9_S9_llllS6_dd.num_named_barrier, 0
	.set _ZN2at6native12_GLOBAL__N_131pdist_backward_kernel_cuda_implIdNS1_5distsIdE1pEEEvPT_PKS6_S9_S9_llllS6_dd.private_seg_size, 0
	.set _ZN2at6native12_GLOBAL__N_131pdist_backward_kernel_cuda_implIdNS1_5distsIdE1pEEEvPT_PKS6_S9_S9_llllS6_dd.uses_vcc, 1
	.set _ZN2at6native12_GLOBAL__N_131pdist_backward_kernel_cuda_implIdNS1_5distsIdE1pEEEvPT_PKS6_S9_S9_llllS6_dd.uses_flat_scratch, 0
	.set _ZN2at6native12_GLOBAL__N_131pdist_backward_kernel_cuda_implIdNS1_5distsIdE1pEEEvPT_PKS6_S9_S9_llllS6_dd.has_dyn_sized_stack, 0
	.set _ZN2at6native12_GLOBAL__N_131pdist_backward_kernel_cuda_implIdNS1_5distsIdE1pEEEvPT_PKS6_S9_S9_llllS6_dd.has_recursion, 0
	.set _ZN2at6native12_GLOBAL__N_131pdist_backward_kernel_cuda_implIdNS1_5distsIdE1pEEEvPT_PKS6_S9_S9_llllS6_dd.has_indirect_call, 0
	.section	.AMDGPU.csdata,"",@progbits
; Kernel info:
; codeLenInByte = 4496
; TotalNumSgprs: 85
; NumVgprs: 61
; ScratchSize: 0
; MemoryBound: 0
; FloatMode: 240
; IeeeMode: 1
; LDSByteSize: 0 bytes/workgroup (compile time only)
; SGPRBlocks: 10
; VGPRBlocks: 15
; NumSGPRsForWavesPerEU: 85
; NumVGPRsForWavesPerEU: 61
; Occupancy: 4
; WaveLimiterHint : 0
; COMPUTE_PGM_RSRC2:SCRATCH_EN: 0
; COMPUTE_PGM_RSRC2:USER_SGPR: 6
; COMPUTE_PGM_RSRC2:TRAP_HANDLER: 0
; COMPUTE_PGM_RSRC2:TGID_X_EN: 1
; COMPUTE_PGM_RSRC2:TGID_Y_EN: 1
; COMPUTE_PGM_RSRC2:TGID_Z_EN: 0
; COMPUTE_PGM_RSRC2:TIDIG_COMP_CNT: 1
	.section	.text._ZN2at6native12_GLOBAL__N_131pdist_backward_kernel_cuda_implIdNS1_5distsIdE3oneEEEvPT_PKS6_S9_S9_llllS6_dd,"axG",@progbits,_ZN2at6native12_GLOBAL__N_131pdist_backward_kernel_cuda_implIdNS1_5distsIdE3oneEEEvPT_PKS6_S9_S9_llllS6_dd,comdat
	.globl	_ZN2at6native12_GLOBAL__N_131pdist_backward_kernel_cuda_implIdNS1_5distsIdE3oneEEEvPT_PKS6_S9_S9_llllS6_dd ; -- Begin function _ZN2at6native12_GLOBAL__N_131pdist_backward_kernel_cuda_implIdNS1_5distsIdE3oneEEEvPT_PKS6_S9_S9_llllS6_dd
	.p2align	8
	.type	_ZN2at6native12_GLOBAL__N_131pdist_backward_kernel_cuda_implIdNS1_5distsIdE3oneEEEvPT_PKS6_S9_S9_llllS6_dd,@function
_ZN2at6native12_GLOBAL__N_131pdist_backward_kernel_cuda_implIdNS1_5distsIdE3oneEEEvPT_PKS6_S9_S9_llllS6_dd: ; @_ZN2at6native12_GLOBAL__N_131pdist_backward_kernel_cuda_implIdNS1_5distsIdE3oneEEEvPT_PKS6_S9_S9_llllS6_dd
; %bb.0:
	s_load_dword s0, s[4:5], 0x64
	s_load_dwordx8 s[8:15], s[4:5], 0x20
	s_add_u32 s16, s4, 0x58
	v_mov_b32_e32 v2, v0
	s_addc_u32 s17, s5, 0
	v_mov_b32_e32 v3, 0
	s_waitcnt lgkmcnt(0)
	s_and_b32 s1, s0, 0xffff
	v_mov_b32_e32 v0, s6
	v_mad_u64_u32 v[2:3], s[2:3], s1, v0, v[2:3]
	v_cmp_gt_i64_e32 vcc, s[14:15], v[2:3]
	s_and_saveexec_b64 s[2:3], vcc
	s_cbranch_execz .LBB21_4
; %bb.1:
	s_lshr_b32 s14, s0, 16
	s_mul_i32 s7, s7, s14
	v_add_u32_e32 v0, s7, v1
	v_ashrrev_i32_e32 v1, 31, v0
	v_cmp_gt_i64_e32 vcc, s[12:13], v[0:1]
	s_and_b64 exec, exec, vcc
	s_cbranch_execz .LBB21_4
; %bb.2:
	v_lshlrev_b64 v[4:5], 1, v[2:3]
	s_load_dwordx4 s[0:3], s[4:5], 0x48
	v_cvt_f64_u32_e32 v[5:6], v5
	v_cvt_f64_u32_e32 v[7:8], v4
	v_mov_b32_e32 v14, s11
	v_lshlrev_b64 v[0:1], 3, v[0:1]
	v_ldexp_f64 v[5:6], v[5:6], 32
	v_add_f64 v[4:5], v[5:6], v[7:8]
	v_mov_b32_e32 v6, 0x100
	s_waitcnt lgkmcnt(0)
	v_add_f64 v[4:5], s[2:3], -v[4:5]
	s_mov_b32 s2, 0
	s_brev_b32 s3, 8
	v_cmp_gt_f64_e32 vcc, s[2:3], v[4:5]
	v_cndmask_b32_e32 v6, 0, v6, vcc
	v_ldexp_f64 v[4:5], v[4:5], v6
	v_rsq_f64_e32 v[6:7], v[4:5]
	v_mul_f64 v[8:9], v[4:5], v[6:7]
	v_mul_f64 v[6:7], v[6:7], 0.5
	v_fma_f64 v[10:11], -v[6:7], v[8:9], 0.5
	v_fma_f64 v[8:9], v[8:9], v[10:11], v[8:9]
	v_fma_f64 v[6:7], v[6:7], v[10:11], v[6:7]
	v_fma_f64 v[10:11], -v[8:9], v[8:9], v[4:5]
	v_fma_f64 v[8:9], v[10:11], v[6:7], v[8:9]
	v_fma_f64 v[10:11], -v[8:9], v[8:9], v[4:5]
	v_fma_f64 v[6:7], v[10:11], v[6:7], v[8:9]
	v_mov_b32_e32 v8, 0xffffff80
	v_mov_b32_e32 v9, 0x260
	v_cndmask_b32_e32 v8, 0, v8, vcc
	v_cmp_class_f64_e32 vcc, v[4:5], v9
	v_mul_lo_u32 v10, v3, s8
	v_mul_lo_u32 v11, v2, s9
	v_ldexp_f64 v[6:7], v[6:7], v8
	v_mad_u64_u32 v[8:9], s[8:9], v2, s8, 0
	v_add3_u32 v9, v9, v11, v10
	v_lshlrev_b64 v[8:9], 3, v[8:9]
	v_cndmask_b32_e32 v5, v7, v5, vcc
	v_cndmask_b32_e32 v4, v6, v4, vcc
	v_add_f64 v[4:5], s[0:1], -v[4:5]
	s_movk_i32 s0, 0xffe0
	v_trunc_f64_e32 v[4:5], v[4:5]
	v_ldexp_f64 v[6:7], v[4:5], s0
	s_load_dwordx4 s[0:3], s[4:5], 0x0
	s_load_dwordx2 s[6:7], s[4:5], 0x10
	s_mov_b32 s4, 0
	s_mov_b32 s5, 0xc1f00000
	s_load_dword s15, s[16:17], 0x4
	s_waitcnt lgkmcnt(0)
	v_mov_b32_e32 v10, s3
	v_mov_b32_e32 v21, s1
	;; [unrolled: 1-line block ×3, first 2 shown]
	v_floor_f64_e32 v[6:7], v[6:7]
	v_fma_f64 v[4:5], v[6:7], s[4:5], v[4:5]
	v_cvt_i32_f64_e32 v7, v[6:7]
	s_lshl_b64 s[4:5], s[12:13], 3
	v_mul_lo_u32 v12, s12, v7
	v_mul_lo_u32 v15, s10, v7
	v_cvt_u32_f64_e32 v6, v[4:5]
	v_add_co_u32_e32 v4, vcc, s2, v8
	v_addc_co_u32_e32 v5, vcc, v10, v9, vcc
	global_load_dwordx2 v[4:5], v[4:5], off
	v_mul_lo_u32 v13, s13, v6
	v_mad_u64_u32 v[8:9], s[2:3], s12, v6, 0
	v_mul_lo_u32 v18, s11, v6
	v_mad_u64_u32 v[10:11], s[2:3], s10, v6, 0
	v_add_co_u32_e32 v16, vcc, 1, v6
	v_addc_co_u32_e32 v17, vcc, 0, v7, vcc
	v_mul_lo_u32 v19, v17, v6
	v_add3_u32 v9, v9, v12, v13
	v_mad_u64_u32 v[12:13], s[2:3], v16, v6, 0
	v_add3_u32 v11, v11, v15, v18
	v_mul_lo_u32 v15, v16, v7
	v_sub_co_u32_e32 v10, vcc, v2, v10
	v_subb_co_u32_e32 v11, vcc, v3, v11, vcc
	v_add3_u32 v13, v13, v15, v19
	v_lshrrev_b32_e32 v2, 31, v13
	v_add_co_u32_e32 v2, vcc, v12, v2
	v_addc_co_u32_e32 v3, vcc, 0, v13, vcc
	v_ashrrev_i64 v[2:3], 1, v[2:3]
	v_lshlrev_b64 v[8:9], 3, v[8:9]
	v_add_co_u32_e32 v19, vcc, v2, v10
	v_addc_co_u32_e32 v20, vcc, v3, v11, vcc
	v_add_co_u32_e32 v12, vcc, v16, v19
	v_addc_co_u32_e32 v13, vcc, v17, v20, vcc
	v_mul_lo_u32 v10, v13, s12
	v_mul_lo_u32 v11, v12, s13
	v_mad_u64_u32 v[2:3], s[8:9], v12, s12, 0
	v_mov_b32_e32 v15, s7
	v_add_co_u32_e32 v8, vcc, s6, v8
	v_add3_u32 v3, v3, v11, v10
	v_lshlrev_b64 v[2:3], 3, v[2:3]
	v_addc_co_u32_e32 v9, vcc, v15, v9, vcc
	v_add_co_u32_e32 v10, vcc, s6, v2
	v_addc_co_u32_e32 v11, vcc, v15, v3, vcc
	v_mov_b32_e32 v18, s5
	v_add_co_u32_e32 v2, vcc, s4, v8
	v_addc_co_u32_e32 v3, vcc, v9, v18, vcc
	v_sub_co_u32_e32 v15, vcc, s10, v6
	v_subb_co_u32_e32 v14, vcc, v14, v7, vcc
	v_add_co_u32_e32 v15, vcc, -2, v15
	v_mad_u64_u32 v[6:7], s[4:5], v19, s10, v[6:7]
	v_mul_lo_u32 v16, v19, s11
	v_mul_lo_u32 v17, v20, s10
	v_addc_co_u32_e32 v14, vcc, -1, v14, vcc
	v_mad_u64_u32 v[12:13], s[4:5], v15, s10, v[12:13]
	v_mul_lo_u32 v18, v15, s11
	v_mul_lo_u32 v19, v14, s10
	v_add3_u32 v7, v17, v7, v16
	v_mul_lo_u32 v16, v6, s13
	v_mad_u64_u32 v[14:15], s[4:5], v6, s12, 0
	v_mul_lo_u32 v7, v7, s12
	v_add3_u32 v6, v19, v13, v18
	v_mul_lo_u32 v17, s13, v12
	v_mad_u64_u32 v[12:13], s[4:5], s12, v12, 0
	v_mul_lo_u32 v18, s12, v6
	v_add3_u32 v15, v15, v16, v7
	v_add_co_u32_e32 v6, vcc, v8, v0
	v_lshlrev_b64 v[14:15], 3, v[14:15]
	v_addc_co_u32_e32 v7, vcc, v9, v1, vcc
	v_add3_u32 v13, v13, v18, v17
	v_lshlrev_b64 v[16:17], 3, v[12:13]
	v_add_co_u32_e32 v12, vcc, s0, v14
	s_mul_i32 s2, s15, s14
	v_addc_co_u32_e32 v13, vcc, v21, v15, vcc
	s_ashr_i32 s3, s2, 31
	v_add_co_u32_e32 v14, vcc, s0, v16
	s_lshl_b64 s[2:3], s[2:3], 3
	v_addc_co_u32_e32 v15, vcc, v22, v17, vcc
	s_mov_b64 s[4:5], 0
.LBB21_3:                               ; =>This Inner Loop Header: Depth=1
	v_add_co_u32_e32 v16, vcc, v10, v0
	v_addc_co_u32_e32 v17, vcc, v11, v1, vcc
	v_add_co_u32_e32 v18, vcc, v8, v0
	v_addc_co_u32_e32 v19, vcc, v9, v1, vcc
	global_load_dwordx2 v[20:21], v[18:19], off
	global_load_dwordx2 v[22:23], v[16:17], off
	s_waitcnt vmcnt(0)
	v_add_f64 v[16:17], v[20:21], -v[22:23]
	v_mov_b32_e32 v20, s3
	v_cmp_lt_f64_e32 vcc, 0, v[16:17]
	v_cndmask_b32_e64 v18, 0, 1, vcc
	v_cmp_gt_f64_e32 vcc, 0, v[16:17]
	v_add_co_u32_e64 v16, s[0:1], v12, v0
	v_addc_co_u32_e64 v17, s[0:1], v13, v1, s[0:1]
	v_add_co_u32_e64 v6, s[0:1], s2, v6
	v_addc_co_u32_e64 v7, s[0:1], v7, v20, s[0:1]
	v_subbrev_co_u32_e32 v18, vcc, 0, v18, vcc
	v_cvt_f64_i32_e32 v[18:19], v18
	v_mul_f64 v[18:19], v[4:5], v[18:19]
	global_store_dwordx2 v[16:17], v[18:19], off
	v_add_co_u32_e32 v16, vcc, v14, v0
	v_addc_co_u32_e32 v17, vcc, v15, v1, vcc
	v_add_co_u32_e32 v0, vcc, s2, v0
	v_addc_co_u32_e32 v1, vcc, v1, v20, vcc
	v_cmp_ge_u64_e32 vcc, v[6:7], v[2:3]
	v_xor_b32_e32 v19, 0x80000000, v19
	s_or_b64 s[4:5], vcc, s[4:5]
	global_store_dwordx2 v[16:17], v[18:19], off
	s_andn2_b64 exec, exec, s[4:5]
	s_cbranch_execnz .LBB21_3
.LBB21_4:
	s_endpgm
	.section	.rodata,"a",@progbits
	.p2align	6, 0x0
	.amdhsa_kernel _ZN2at6native12_GLOBAL__N_131pdist_backward_kernel_cuda_implIdNS1_5distsIdE3oneEEEvPT_PKS6_S9_S9_llllS6_dd
		.amdhsa_group_segment_fixed_size 0
		.amdhsa_private_segment_fixed_size 0
		.amdhsa_kernarg_size 344
		.amdhsa_user_sgpr_count 6
		.amdhsa_user_sgpr_private_segment_buffer 1
		.amdhsa_user_sgpr_dispatch_ptr 0
		.amdhsa_user_sgpr_queue_ptr 0
		.amdhsa_user_sgpr_kernarg_segment_ptr 1
		.amdhsa_user_sgpr_dispatch_id 0
		.amdhsa_user_sgpr_flat_scratch_init 0
		.amdhsa_user_sgpr_private_segment_size 0
		.amdhsa_uses_dynamic_stack 0
		.amdhsa_system_sgpr_private_segment_wavefront_offset 0
		.amdhsa_system_sgpr_workgroup_id_x 1
		.amdhsa_system_sgpr_workgroup_id_y 1
		.amdhsa_system_sgpr_workgroup_id_z 0
		.amdhsa_system_sgpr_workgroup_info 0
		.amdhsa_system_vgpr_workitem_id 1
		.amdhsa_next_free_vgpr 24
		.amdhsa_next_free_sgpr 18
		.amdhsa_reserve_vcc 1
		.amdhsa_reserve_flat_scratch 0
		.amdhsa_float_round_mode_32 0
		.amdhsa_float_round_mode_16_64 0
		.amdhsa_float_denorm_mode_32 3
		.amdhsa_float_denorm_mode_16_64 3
		.amdhsa_dx10_clamp 1
		.amdhsa_ieee_mode 1
		.amdhsa_fp16_overflow 0
		.amdhsa_exception_fp_ieee_invalid_op 0
		.amdhsa_exception_fp_denorm_src 0
		.amdhsa_exception_fp_ieee_div_zero 0
		.amdhsa_exception_fp_ieee_overflow 0
		.amdhsa_exception_fp_ieee_underflow 0
		.amdhsa_exception_fp_ieee_inexact 0
		.amdhsa_exception_int_div_zero 0
	.end_amdhsa_kernel
	.section	.text._ZN2at6native12_GLOBAL__N_131pdist_backward_kernel_cuda_implIdNS1_5distsIdE3oneEEEvPT_PKS6_S9_S9_llllS6_dd,"axG",@progbits,_ZN2at6native12_GLOBAL__N_131pdist_backward_kernel_cuda_implIdNS1_5distsIdE3oneEEEvPT_PKS6_S9_S9_llllS6_dd,comdat
.Lfunc_end21:
	.size	_ZN2at6native12_GLOBAL__N_131pdist_backward_kernel_cuda_implIdNS1_5distsIdE3oneEEEvPT_PKS6_S9_S9_llllS6_dd, .Lfunc_end21-_ZN2at6native12_GLOBAL__N_131pdist_backward_kernel_cuda_implIdNS1_5distsIdE3oneEEEvPT_PKS6_S9_S9_llllS6_dd
                                        ; -- End function
	.set _ZN2at6native12_GLOBAL__N_131pdist_backward_kernel_cuda_implIdNS1_5distsIdE3oneEEEvPT_PKS6_S9_S9_llllS6_dd.num_vgpr, 24
	.set _ZN2at6native12_GLOBAL__N_131pdist_backward_kernel_cuda_implIdNS1_5distsIdE3oneEEEvPT_PKS6_S9_S9_llllS6_dd.num_agpr, 0
	.set _ZN2at6native12_GLOBAL__N_131pdist_backward_kernel_cuda_implIdNS1_5distsIdE3oneEEEvPT_PKS6_S9_S9_llllS6_dd.numbered_sgpr, 18
	.set _ZN2at6native12_GLOBAL__N_131pdist_backward_kernel_cuda_implIdNS1_5distsIdE3oneEEEvPT_PKS6_S9_S9_llllS6_dd.num_named_barrier, 0
	.set _ZN2at6native12_GLOBAL__N_131pdist_backward_kernel_cuda_implIdNS1_5distsIdE3oneEEEvPT_PKS6_S9_S9_llllS6_dd.private_seg_size, 0
	.set _ZN2at6native12_GLOBAL__N_131pdist_backward_kernel_cuda_implIdNS1_5distsIdE3oneEEEvPT_PKS6_S9_S9_llllS6_dd.uses_vcc, 1
	.set _ZN2at6native12_GLOBAL__N_131pdist_backward_kernel_cuda_implIdNS1_5distsIdE3oneEEEvPT_PKS6_S9_S9_llllS6_dd.uses_flat_scratch, 0
	.set _ZN2at6native12_GLOBAL__N_131pdist_backward_kernel_cuda_implIdNS1_5distsIdE3oneEEEvPT_PKS6_S9_S9_llllS6_dd.has_dyn_sized_stack, 0
	.set _ZN2at6native12_GLOBAL__N_131pdist_backward_kernel_cuda_implIdNS1_5distsIdE3oneEEEvPT_PKS6_S9_S9_llllS6_dd.has_recursion, 0
	.set _ZN2at6native12_GLOBAL__N_131pdist_backward_kernel_cuda_implIdNS1_5distsIdE3oneEEEvPT_PKS6_S9_S9_llllS6_dd.has_indirect_call, 0
	.section	.AMDGPU.csdata,"",@progbits
; Kernel info:
; codeLenInByte = 1068
; TotalNumSgprs: 22
; NumVgprs: 24
; ScratchSize: 0
; MemoryBound: 0
; FloatMode: 240
; IeeeMode: 1
; LDSByteSize: 0 bytes/workgroup (compile time only)
; SGPRBlocks: 2
; VGPRBlocks: 5
; NumSGPRsForWavesPerEU: 22
; NumVGPRsForWavesPerEU: 24
; Occupancy: 10
; WaveLimiterHint : 1
; COMPUTE_PGM_RSRC2:SCRATCH_EN: 0
; COMPUTE_PGM_RSRC2:USER_SGPR: 6
; COMPUTE_PGM_RSRC2:TRAP_HANDLER: 0
; COMPUTE_PGM_RSRC2:TGID_X_EN: 1
; COMPUTE_PGM_RSRC2:TGID_Y_EN: 1
; COMPUTE_PGM_RSRC2:TGID_Z_EN: 0
; COMPUTE_PGM_RSRC2:TIDIG_COMP_CNT: 1
	.section	.text._ZN2at6native12_GLOBAL__N_131pdist_backward_kernel_cuda_implIdNS1_5distsIdE6lt_twoEEEvPT_PKS6_S9_S9_llllS6_dd,"axG",@progbits,_ZN2at6native12_GLOBAL__N_131pdist_backward_kernel_cuda_implIdNS1_5distsIdE6lt_twoEEEvPT_PKS6_S9_S9_llllS6_dd,comdat
	.globl	_ZN2at6native12_GLOBAL__N_131pdist_backward_kernel_cuda_implIdNS1_5distsIdE6lt_twoEEEvPT_PKS6_S9_S9_llllS6_dd ; -- Begin function _ZN2at6native12_GLOBAL__N_131pdist_backward_kernel_cuda_implIdNS1_5distsIdE6lt_twoEEEvPT_PKS6_S9_S9_llllS6_dd
	.p2align	8
	.type	_ZN2at6native12_GLOBAL__N_131pdist_backward_kernel_cuda_implIdNS1_5distsIdE6lt_twoEEEvPT_PKS6_S9_S9_llllS6_dd,@function
_ZN2at6native12_GLOBAL__N_131pdist_backward_kernel_cuda_implIdNS1_5distsIdE6lt_twoEEEvPT_PKS6_S9_S9_llllS6_dd: ; @_ZN2at6native12_GLOBAL__N_131pdist_backward_kernel_cuda_implIdNS1_5distsIdE6lt_twoEEEvPT_PKS6_S9_S9_llllS6_dd
; %bb.0:
	s_load_dword s0, s[4:5], 0x64
	s_load_dwordx16 s[8:23], s[4:5], 0x0
	s_add_u32 s2, s4, 0x58
	v_mov_b32_e32 v2, v0
	s_addc_u32 s3, s5, 0
	v_mov_b32_e32 v3, 0
	s_waitcnt lgkmcnt(0)
	s_and_b32 s1, s0, 0xffff
	v_mov_b32_e32 v0, s6
	v_mad_u64_u32 v[4:5], s[24:25], s1, v0, v[2:3]
	v_cmp_gt_i64_e32 vcc, s[22:23], v[4:5]
	s_and_saveexec_b64 s[22:23], vcc
	s_cbranch_execz .LBB22_6
; %bb.1:
	s_lshr_b32 s33, s0, 16
	s_mul_i32 s7, s7, s33
	v_add_u32_e32 v6, s7, v1
	v_ashrrev_i32_e32 v7, 31, v6
	v_cmp_gt_i64_e32 vcc, s[20:21], v[6:7]
	s_and_b64 exec, exec, vcc
	s_cbranch_execz .LBB22_6
; %bb.2:
	v_lshlrev_b64 v[0:1], 3, v[4:5]
	v_mov_b32_e32 v2, s15
	v_add_co_u32_e32 v0, vcc, s14, v0
	v_addc_co_u32_e32 v1, vcc, v2, v1, vcc
	global_load_dwordx2 v[10:11], v[0:1], off
	s_load_dwordx4 s[24:27], s[4:5], 0x40
	s_load_dwordx2 s[0:1], s[4:5], 0x50
	v_mov_b32_e32 v30, 0x3ff00000
	s_mov_b32 s14, 0x55555555
	s_mov_b32 s15, 0x3fe55555
	s_waitcnt lgkmcnt(0)
	v_add_f64 v[0:1], s[24:25], -1.0
	s_mov_b32 s22, 0x4222de17
	s_mov_b32 s23, 0x3fbdee67
	;; [unrolled: 1-line block ×24, first 2 shown]
	s_movk_i32 s82, 0x204
	s_mov_b32 s53, 0xbfe62e42
	s_mov_b32 s52, s48
	;; [unrolled: 1-line block ×5, first 2 shown]
	v_mov_b32_e32 v50, s11
	s_mov_b32 s57, 0x3e5ade15
	s_mov_b32 s4, 0
	;; [unrolled: 1-line block ×19, first 2 shown]
	s_lshl_b64 s[6:7], s[20:21], 3
	v_lshlrev_b64 v[6:7], 3, v[6:7]
	v_mov_b32_e32 v51, s7
	s_mov_b32 s74, 0
	s_mov_b32 s76, 0
	;; [unrolled: 1-line block ×6, first 2 shown]
	v_cmp_lt_f64_e64 s[24:25], s[24:25], 1.0
	s_mov_b64 s[80:81], 0
	s_waitcnt vmcnt(0)
	v_cmp_neq_f64_e32 vcc, 1.0, v[10:11]
	v_cndmask_b32_e32 v9, v30, v1, vcc
	v_cndmask_b32_e32 v8, 0, v0, vcc
	v_cmp_neq_f64_e32 vcc, 0, v[8:9]
	v_cndmask_b32_e32 v15, v30, v11, vcc
	v_cndmask_b32_e32 v14, 0, v10, vcc
	v_frexp_mant_f64_e64 v[2:3], |v[14:15]|
	v_cmp_gt_f64_e32 vcc, s[14:15], v[2:3]
	v_cndmask_b32_e64 v12, 0, 1, vcc
	v_ldexp_f64 v[2:3], v[2:3], v12
	v_add_f64 v[12:13], v[2:3], 1.0
	v_add_f64 v[20:21], v[2:3], -1.0
	v_rcp_f64_e32 v[16:17], v[12:13]
	v_add_f64 v[22:23], v[12:13], -1.0
	v_add_f64 v[2:3], v[2:3], -v[22:23]
	v_fma_f64 v[18:19], -v[12:13], v[16:17], 1.0
	v_fma_f64 v[16:17], v[18:19], v[16:17], v[16:17]
	v_fma_f64 v[18:19], -v[12:13], v[16:17], 1.0
	v_fma_f64 v[16:17], v[18:19], v[16:17], v[16:17]
	v_mul_f64 v[18:19], v[20:21], v[16:17]
	v_mul_f64 v[24:25], v[12:13], v[18:19]
	v_fma_f64 v[12:13], v[18:19], v[12:13], -v[24:25]
	v_fma_f64 v[2:3], v[18:19], v[2:3], v[12:13]
	v_add_f64 v[12:13], v[24:25], v[2:3]
	v_add_f64 v[22:23], v[20:21], -v[12:13]
	v_add_f64 v[24:25], v[12:13], -v[24:25]
	v_add_f64 v[20:21], v[20:21], -v[22:23]
	v_add_f64 v[2:3], v[24:25], -v[2:3]
	v_add_f64 v[12:13], v[20:21], -v[12:13]
	v_add_f64 v[2:3], v[2:3], v[12:13]
	v_add_f64 v[2:3], v[22:23], v[2:3]
	v_mul_f64 v[2:3], v[16:17], v[2:3]
	v_add_f64 v[12:13], v[18:19], v[2:3]
	v_add_f64 v[16:17], v[12:13], -v[18:19]
	v_mul_f64 v[18:19], v[12:13], v[12:13]
	v_add_f64 v[16:17], v[2:3], -v[16:17]
	v_fma_f64 v[2:3], v[12:13], v[12:13], -v[18:19]
	v_add_f64 v[20:21], v[16:17], v[16:17]
	v_fma_f64 v[20:21], v[12:13], v[20:21], v[2:3]
	v_mov_b32_e32 v2, 0x968915a9
	v_mov_b32_e32 v3, 0x3fba6564
	v_add_f64 v[22:23], v[18:19], v[20:21]
	v_fma_f64 v[24:25], v[22:23], s[22:23], v[2:3]
	v_add_f64 v[18:19], v[22:23], -v[18:19]
	v_mul_f64 v[31:32], v[12:13], v[22:23]
	v_fma_f64 v[24:25], v[22:23], v[24:25], s[28:29]
	v_add_f64 v[18:19], v[20:21], -v[18:19]
	v_fma_f64 v[24:25], v[22:23], v[24:25], s[30:31]
	v_fma_f64 v[24:25], v[22:23], v[24:25], s[34:35]
	;; [unrolled: 1-line block ×6, first 2 shown]
	v_mul_f64 v[26:27], v[22:23], v[24:25]
	v_fma_f64 v[20:21], v[22:23], v[24:25], -v[26:27]
	v_fma_f64 v[20:21], v[18:19], v[24:25], v[20:21]
	v_add_f64 v[24:25], v[26:27], v[20:21]
	v_add_f64 v[28:29], v[24:25], s[14:15]
	v_add_f64 v[26:27], v[24:25], -v[26:27]
	v_add_f64 v[33:34], v[28:29], s[44:45]
	v_add_f64 v[20:21], v[20:21], -v[26:27]
	v_fma_f64 v[26:27], v[22:23], v[12:13], -v[31:32]
	s_movk_i32 s44, 0xffe0
	v_add_f64 v[24:25], v[24:25], -v[33:34]
	v_add_f64 v[20:21], v[20:21], s[46:47]
	v_fma_f64 v[22:23], v[22:23], v[16:17], v[26:27]
	v_ldexp_f64 v[16:17], v[16:17], 1
	v_add_f64 v[20:21], v[20:21], v[24:25]
	v_fma_f64 v[18:19], v[18:19], v[12:13], v[22:23]
	v_ldexp_f64 v[12:13], v[12:13], 1
	v_add_f64 v[22:23], v[28:29], v[20:21]
	v_add_f64 v[24:25], v[31:32], v[18:19]
	v_add_f64 v[26:27], v[28:29], -v[22:23]
	v_mul_f64 v[28:29], v[24:25], v[22:23]
	v_add_f64 v[31:32], v[24:25], -v[31:32]
	v_add_f64 v[20:21], v[20:21], v[26:27]
	v_fma_f64 v[26:27], v[24:25], v[22:23], -v[28:29]
	v_add_f64 v[18:19], v[18:19], -v[31:32]
	v_lshlrev_b64 v[31:32], 1, v[4:5]
	v_cvt_f64_u32_e32 v[32:33], v32
	v_cvt_f64_u32_e32 v[36:37], v31
	v_fma_f64 v[20:21], v[24:25], v[20:21], v[26:27]
	v_ldexp_f64 v[31:32], v[32:33], 32
	v_mov_b32_e32 v33, s19
	v_fma_f64 v[18:19], v[18:19], v[22:23], v[20:21]
	v_frexp_exp_i32_f64_e32 v22, v[14:15]
	v_add_f64 v[20:21], v[28:29], v[18:19]
	v_subbrev_co_u32_e32 v26, vcc, 0, v22, vcc
	v_cvt_f64_i32_e32 v[26:27], v26
	v_add_f64 v[22:23], v[12:13], v[20:21]
	v_add_f64 v[24:25], v[20:21], -v[28:29]
	v_mul_f64 v[28:29], v[26:27], s[48:49]
	v_add_f64 v[12:13], v[22:23], -v[12:13]
	v_add_f64 v[18:19], v[18:19], -v[24:25]
	v_fma_f64 v[24:25], v[26:27], s[48:49], -v[28:29]
	v_add_f64 v[12:13], v[20:21], -v[12:13]
	v_add_f64 v[16:17], v[16:17], v[18:19]
	v_fma_f64 v[18:19], v[26:27], s[50:51], v[24:25]
	v_add_f64 v[12:13], v[16:17], v[12:13]
	v_add_f64 v[16:17], v[28:29], v[18:19]
	;; [unrolled: 1-line block ×3, first 2 shown]
	v_add_f64 v[28:29], v[16:17], -v[28:29]
	v_add_f64 v[24:25], v[16:17], v[20:21]
	v_add_f64 v[22:23], v[20:21], -v[22:23]
	v_add_f64 v[18:19], v[18:19], -v[28:29]
	v_mov_b32_e32 v28, 0xffffff80
	v_mov_b32_e32 v29, 0x260
	v_add_f64 v[26:27], v[24:25], -v[16:17]
	v_add_f64 v[12:13], v[12:13], -v[22:23]
	v_add_f64 v[22:23], v[31:32], v[36:37]
	v_add_f64 v[34:35], v[24:25], -v[26:27]
	v_add_f64 v[20:21], v[20:21], -v[26:27]
	v_add_f64 v[26:27], v[18:19], v[12:13]
	v_add_f64 v[16:17], v[16:17], -v[34:35]
	v_mul_lo_u32 v34, v5, s16
	v_mul_lo_u32 v35, v4, s17
	v_add_f64 v[16:17], v[20:21], v[16:17]
	v_add_f64 v[20:21], s[0:1], -v[22:23]
	s_mov_b32 s0, 0
	s_brev_b32 s1, 8
	v_add_f64 v[22:23], v[26:27], -v[18:19]
	v_add_f64 v[31:32], v[26:27], v[16:17]
	v_cmp_gt_f64_e32 vcc, s[0:1], v[20:21]
	v_mov_b32_e32 v16, 0x100
	v_add_f64 v[12:13], v[12:13], -v[22:23]
	v_cndmask_b32_e32 v16, 0, v16, vcc
	v_ldexp_f64 v[16:17], v[20:21], v16
	v_add_f64 v[20:21], v[26:27], -v[22:23]
	v_add_f64 v[26:27], v[24:25], v[31:32]
	v_cndmask_b32_e32 v28, 0, v28, vcc
	v_rsq_f64_e32 v[36:37], v[16:17]
	v_add_f64 v[20:21], v[18:19], -v[20:21]
	v_add_f64 v[22:23], v[26:27], -v[24:25]
	v_mad_u64_u32 v[18:19], s[0:1], v4, s16, 0
	s_mov_b32 s16, 0x652b82fe
	s_mov_b32 s17, 0x3ff71547
	v_cmp_class_f64_e32 vcc, v[16:17], v29
	v_add3_u32 v19, v19, v35, v34
	v_add_f64 v[12:13], v[12:13], v[20:21]
	v_add_f64 v[20:21], v[31:32], -v[22:23]
	v_lshlrev_b64 v[18:19], 3, v[18:19]
	v_mul_f64 v[34:35], v[8:9], 0.5
	v_mul_f64 v[22:23], v[16:17], v[36:37]
	v_mul_f64 v[24:25], v[36:37], 0.5
	v_add_f64 v[31:32], v[12:13], v[20:21]
	v_mov_b32_e32 v12, 0xfca7ab0c
	v_mov_b32_e32 v13, 0x3e928af3
	v_trunc_f64_e32 v[44:45], v[34:35]
	v_fma_f64 v[36:37], -v[24:25], v[22:23], 0.5
	v_add_f64 v[38:39], v[26:27], v[31:32]
	v_fma_f64 v[22:23], v[22:23], v[36:37], v[22:23]
	v_add_f64 v[26:27], v[38:39], -v[26:27]
	v_mul_f64 v[20:21], v[8:9], v[38:39]
	v_fma_f64 v[40:41], v[24:25], v[36:37], v[24:25]
	v_mov_b32_e32 v36, s9
	v_mov_b32_e32 v37, s13
	v_fma_f64 v[24:25], -v[22:23], v[22:23], v[16:17]
	v_add_f64 v[26:27], v[31:32], -v[26:27]
	v_fma_f64 v[31:32], v[8:9], v[38:39], -v[20:21]
	v_cmp_class_f64_e64 s[0:1], v[20:21], s82
	v_mov_b32_e32 v38, s9
	s_brev_b32 s9, -2
	v_mov_b32_e32 v39, s13
	v_fma_f64 v[42:43], v[24:25], v[40:41], v[22:23]
	v_fma_f64 v[22:23], v[8:9], v[26:27], v[31:32]
	v_mov_b32_e32 v31, 0x7ff00000
	v_mov_b32_e32 v32, 0x7ff80000
	v_fma_f64 v[26:27], -v[42:43], v[42:43], v[16:17]
	v_add_f64 v[24:25], v[20:21], v[22:23]
	v_fma_f64 v[40:41], v[26:27], v[40:41], v[42:43]
	v_cndmask_b32_e64 v27, v25, v21, s[0:1]
	v_cndmask_b32_e64 v26, v24, v20, s[0:1]
	v_mul_f64 v[42:43], v[26:27], s[16:17]
	s_load_dword s0, s[2:3], 0x4
	v_cmp_lt_f64_e64 s[2:3], |v[14:15]|, 1.0
	v_add_f64 v[20:21], v[24:25], -v[20:21]
	v_ldexp_f64 v[40:41], v[40:41], v28
	v_rndne_f64_e32 v[28:29], v[42:43]
	v_add_f64 v[20:21], v[22:23], -v[20:21]
	v_cndmask_b32_e32 v17, v41, v17, vcc
	v_cndmask_b32_e32 v16, v40, v16, vcc
	v_add_f64 v[16:17], s[26:27], -v[16:17]
	v_add_co_u32_e32 v18, vcc, s10, v18
	v_fma_f64 v[40:41], v[28:29], s[52:53], v[26:27]
	s_waitcnt lgkmcnt(0)
	s_mul_i32 s26, s0, s33
	v_cmp_neq_f64_e64 s[0:1], v[8:9], |v[8:9]|
	v_addc_co_u32_e32 v19, vcc, v50, v19, vcc
	v_trunc_f64_e32 v[42:43], v[16:17]
	v_trunc_f64_e32 v[16:17], v[8:9]
	v_cmp_gt_f64_e32 vcc, 0, v[8:9]
	v_fma_f64 v[40:41], v[28:29], s[54:55], v[40:41]
	v_cvt_i32_f64_e32 v28, v[28:29]
	s_xor_b64 s[0:1], s[0:1], s[2:3]
	v_cmp_neq_f64_e64 s[2:3], v[44:45], v[34:35]
	s_ashr_i32 s27, s26, 31
	v_ldexp_f64 v[46:47], v[42:43], s44
	v_cndmask_b32_e64 v50, v31, 0, vcc
	v_fma_f64 v[48:49], v[40:41], s[56:57], v[12:13]
	v_cmp_eq_f64_e32 vcc, v[16:17], v[8:9]
	global_load_dwordx2 v[16:17], v[18:19], off
	v_cndmask_b32_e64 v18, v31, 0, s[0:1]
	v_cmp_eq_f64_e64 s[0:1], 0, v[10:11]
	v_floor_f64_e32 v[46:47], v[46:47]
	v_fma_f64 v[48:49], v[40:41], v[48:49], s[58:59]
	s_and_b64 s[2:3], vcc, s[2:3]
	v_cndmask_b32_e64 v34, 0, v15, s[2:3]
	v_fma_f64 v[10:11], v[46:47], s[4:5], v[42:43]
	v_cmp_neq_f64_e64 s[4:5], |v[14:15]|, 1.0
	v_cvt_i32_f64_e32 v43, v[46:47]
	v_bfi_b32 v46, s9, v50, v34
	v_mul_lo_u32 v47, s20, v43
	v_cvt_u32_f64_e32 v42, v[10:11]
	v_cndmask_b32_e64 v52, v30, v18, s[4:5]
	v_fma_f64 v[18:19], v[40:41], v[48:49], s[60:61]
	v_cndmask_b32_e64 v48, v30, v15, s[2:3]
	v_mad_u64_u32 v[34:35], s[2:3], s18, v42, 0
	v_mul_lo_u32 v49, s18, v43
	v_mul_lo_u32 v53, s19, v42
	;; [unrolled: 1-line block ×3, first 2 shown]
	v_cmp_nlt_f64_e64 s[4:5], s[76:77], v[26:27]
	v_fma_f64 v[10:11], v[40:41], v[18:19], s[62:63]
	v_mad_u64_u32 v[18:19], s[2:3], s20, v42, 0
	v_add_co_u32_e64 v54, s[2:3], 1, v42
	v_addc_co_u32_e64 v55, s[2:3], 0, v43, s[2:3]
	v_sub_co_u32_e64 v56, s[2:3], s18, v42
	v_fma_f64 v[10:11], v[40:41], v[10:11], s[64:65]
	v_subb_co_u32_e64 v33, s[2:3], v33, v43, s[2:3]
	v_mad_u64_u32 v[44:45], s[2:3], v54, v42, 0
	v_add_co_u32_e64 v56, s[2:3], -2, v56
	v_addc_co_u32_e64 v33, s[2:3], -1, v33, s[2:3]
	v_fma_f64 v[10:11], v[40:41], v[10:11], s[66:67]
	v_mul_lo_u32 v60, v33, s18
	v_add3_u32 v33, v35, v49, v53
	v_sub_co_u32_e64 v35, s[2:3], v4, v34
	v_add3_u32 v19, v19, v47, v50
	v_subb_co_u32_e64 v47, s[2:3], v5, v33, s[2:3]
	v_fma_f64 v[10:11], v[40:41], v[10:11], s[68:69]
	v_mul_lo_u32 v57, v55, v42
	v_mul_lo_u32 v58, v54, v43
	v_mul_lo_u32 v59, v56, s19
	v_add3_u32 v33, v45, v58, v57
	v_fma_f64 v[4:5], v[40:41], v[10:11], s[70:71]
	v_lshlrev_b64 v[10:11], 3, v[18:19]
	v_lshrrev_b32_e32 v18, 31, v33
	v_add_co_u32_e64 v18, s[2:3], v44, v18
	v_addc_co_u32_e64 v19, s[2:3], 0, v33, s[2:3]
	v_add_co_u32_e64 v33, s[2:3], s12, v10
	v_fma_f64 v[44:45], v[40:41], v[4:5], s[72:73]
	v_addc_co_u32_e64 v34, s[2:3], v39, v11, s[2:3]
	v_add_co_u32_e64 v4, s[2:3], s6, v33
	v_addc_co_u32_e64 v5, s[2:3], v34, v51, s[2:3]
	v_ashrrev_i64 v[18:19], 1, v[18:19]
	v_fma_f64 v[44:45], v[40:41], v[44:45], 1.0
	v_add_co_u32_e64 v10, s[2:3], v33, v6
	v_addc_co_u32_e64 v11, s[2:3], v34, v7, s[2:3]
	v_add_co_u32_e64 v35, s[2:3], v18, v35
	v_addc_co_u32_e64 v47, s[2:3], v19, v47, s[2:3]
	v_fma_f64 v[18:19], v[40:41], v[44:45], 1.0
	v_add_co_u32_e64 v39, s[2:3], v54, v35
	v_addc_co_u32_e64 v40, s[2:3], v55, v47, s[2:3]
	v_mad_u64_u32 v[24:25], s[2:3], v35, s18, v[42:43]
	v_cmp_neq_f64_e64 s[2:3], |v[26:27]|, s[74:75]
	v_ldexp_f64 v[18:19], v[18:19], v28
	v_cmp_ngt_f64_e64 s[6:7], s[78:79], v[26:27]
	v_mul_lo_u32 v28, v35, s19
	v_mul_lo_u32 v29, v47, s18
	;; [unrolled: 1-line block ×4, first 2 shown]
	v_mad_u64_u32 v[22:23], s[10:11], v39, s20, 0
	v_cndmask_b32_e64 v19, v31, v19, s[4:5]
	v_cndmask_b32_e64 v21, 0, v21, s[2:3]
	;; [unrolled: 1-line block ×3, first 2 shown]
	s_and_b64 s[2:3], s[6:7], s[4:5]
	v_cndmask_b32_e64 v19, 0, v19, s[6:7]
	v_cndmask_b32_e64 v18, 0, v18, s[2:3]
	v_fma_f64 v[20:21], v[18:19], v[20:21], v[18:19]
	v_cmp_class_f64_e64 s[2:3], v[18:19], s82
	v_add3_u32 v28, v29, v25, v28
	v_add3_u32 v23, v23, v41, v35
	v_mul_lo_u32 v35, v28, s20
	v_mad_u64_u32 v[26:27], s[10:11], v56, s18, v[39:40]
	v_mul_lo_u32 v39, v24, s21
	v_mad_u64_u32 v[24:25], s[4:5], v24, s20, 0
	v_cndmask_b32_e64 v28, v20, v18, s[2:3]
	v_cndmask_b32_e64 v18, v21, v19, s[2:3]
	v_bfi_b32 v29, s9, v18, v48
	v_cndmask_b32_e32 v40, v32, v29, vcc
	v_cndmask_b32_e32 v41, 0, v28, vcc
	v_cmp_gt_f64_e32 vcc, 0, v[14:15]
	v_add3_u32 v20, v60, v27, v59
	v_mul_lo_u32 v27, s21, v26
	v_mad_u64_u32 v[18:19], s[2:3], s20, v26, 0
	v_mul_lo_u32 v26, s20, v20
	v_lshlrev_b64 v[20:21], 3, v[22:23]
	v_cmp_class_f64_e64 s[2:3], v[14:15], s82
	v_cndmask_b32_e32 v22, v28, v41, vcc
	v_cndmask_b32_e32 v23, v29, v40, vcc
	v_cmp_class_f64_e64 vcc, v[8:9], s82
	v_add_co_u32_e64 v28, s[4:5], s12, v20
	v_add3_u32 v25, v25, v39, v35
	v_addc_co_u32_e64 v29, s[4:5], v37, v21, s[4:5]
	v_lshlrev_b64 v[20:21], 3, v[24:25]
	v_add3_u32 v19, v19, v26, v27
	v_cndmask_b32_e32 v23, v23, v52, vcc
	v_cndmask_b32_e64 v23, v23, v46, s[2:3]
	s_or_b64 s[2:3], s[2:3], vcc
	v_cmp_o_f64_e32 vcc, v[14:15], v[8:9]
	v_lshlrev_b64 v[18:19], 3, v[18:19]
	v_cndmask_b32_e64 v22, v22, 0, s[2:3]
	v_add_co_u32_e64 v35, s[2:3], s8, v20
	v_addc_co_u32_e64 v36, s[2:3], v36, v21, s[2:3]
	v_add_co_u32_e64 v37, s[2:3], s8, v18
	v_addc_co_u32_e64 v38, s[2:3], v38, v19, s[2:3]
	v_cndmask_b32_e32 v8, 0, v22, vcc
	v_cndmask_b32_e32 v9, v32, v23, vcc
	s_lshl_b64 s[8:9], s[26:27], 3
	s_branch .LBB22_4
.LBB22_3:                               ;   in Loop: Header=BB22_4 Depth=1
	s_or_b64 exec, exec, s[10:11]
	v_add_co_u32_e32 v14, vcc, v37, v6
	v_addc_co_u32_e32 v15, vcc, v38, v7, vcc
	v_add_co_u32_e32 v20, vcc, v35, v6
	v_addc_co_u32_e32 v21, vcc, v36, v7, vcc
	global_store_dwordx2 v[20:21], v[18:19], off
	v_mov_b32_e32 v20, s9
	v_add_co_u32_e32 v10, vcc, s8, v10
	v_addc_co_u32_e32 v11, vcc, v11, v20, vcc
	v_cmp_ge_u64_e32 vcc, v[10:11], v[4:5]
	v_xor_b32_e32 v19, 0x80000000, v19
	s_or_b64 s[80:81], vcc, s[80:81]
	v_add_co_u32_e32 v6, vcc, s8, v6
	v_addc_co_u32_e32 v7, vcc, v7, v20, vcc
	global_store_dwordx2 v[14:15], v[18:19], off
	s_andn2_b64 exec, exec, s[80:81]
	s_cbranch_execz .LBB22_6
.LBB22_4:                               ; =>This Inner Loop Header: Depth=1
	v_add_co_u32_e32 v14, vcc, v28, v6
	v_addc_co_u32_e32 v15, vcc, v29, v7, vcc
	v_add_co_u32_e32 v18, vcc, v33, v6
	v_addc_co_u32_e32 v19, vcc, v34, v7, vcc
	global_load_dwordx2 v[18:19], v[18:19], off
	s_nop 0
	global_load_dwordx2 v[14:15], v[14:15], off
	s_waitcnt vmcnt(0)
	v_add_f64 v[14:15], v[18:19], -v[14:15]
	v_mov_b32_e32 v18, 0
	v_mov_b32_e32 v19, 0
	v_cmp_eq_f64_e32 vcc, 0, v[14:15]
	s_and_b64 s[2:3], s[24:25], vcc
	s_nor_b64 s[2:3], s[0:1], s[2:3]
	s_and_saveexec_b64 s[10:11], s[2:3]
	s_cbranch_execz .LBB22_3
; %bb.5:                                ;   in Loop: Header=BB22_4 Depth=1
	v_cmp_neq_f64_e64 vcc, |v[14:15]|, 1.0
	s_mov_b32 s44, s14
	s_mov_b32 s52, s48
	;; [unrolled: 1-line block ×3, first 2 shown]
	v_cndmask_b32_e32 v19, v30, v1, vcc
	v_cndmask_b32_e32 v18, 0, v0, vcc
	v_cmp_neq_f64_e32 vcc, 0, v[18:19]
	v_cmp_neq_f64_e64 s[12:13], v[18:19], |v[18:19]|
	v_cmp_gt_f64_e64 s[6:7], 0, v[18:19]
	v_cndmask_b32_e32 v21, v30, v15, vcc
	v_cndmask_b32_e32 v20, 0, v14, vcc
	v_frexp_mant_f64_e64 v[22:23], |v[20:21]|
	v_cmp_lt_f64_e64 s[18:19], |v[20:21]|, 1.0
	v_cmp_eq_f64_e64 s[20:21], |v[20:21]|, 0
	v_cmp_gt_f64_e32 vcc, s[14:15], v[22:23]
	s_xor_b64 s[6:7], s[6:7], s[20:21]
	v_cndmask_b32_e64 v24, 0, 1, vcc
	v_ldexp_f64 v[22:23], v[22:23], v24
	v_add_f64 v[24:25], v[22:23], 1.0
	v_add_f64 v[41:42], v[22:23], -1.0
	v_rcp_f64_e32 v[26:27], v[24:25]
	v_add_f64 v[43:44], v[24:25], -1.0
	v_add_f64 v[22:23], v[22:23], -v[43:44]
	v_fma_f64 v[39:40], -v[24:25], v[26:27], 1.0
	v_fma_f64 v[26:27], v[39:40], v[26:27], v[26:27]
	v_fma_f64 v[39:40], -v[24:25], v[26:27], 1.0
	v_fma_f64 v[26:27], v[39:40], v[26:27], v[26:27]
	v_mul_f64 v[39:40], v[41:42], v[26:27]
	v_mul_f64 v[45:46], v[24:25], v[39:40]
	v_fma_f64 v[24:25], v[39:40], v[24:25], -v[45:46]
	v_fma_f64 v[22:23], v[39:40], v[22:23], v[24:25]
	v_add_f64 v[24:25], v[45:46], v[22:23]
	v_add_f64 v[43:44], v[41:42], -v[24:25]
	v_add_f64 v[45:46], v[24:25], -v[45:46]
	;; [unrolled: 1-line block ×5, first 2 shown]
	v_add_f64 v[22:23], v[22:23], v[24:25]
	v_add_f64 v[22:23], v[43:44], v[22:23]
	v_mul_f64 v[22:23], v[26:27], v[22:23]
	v_add_f64 v[24:25], v[39:40], v[22:23]
	v_add_f64 v[26:27], v[24:25], -v[39:40]
	v_mul_f64 v[39:40], v[24:25], v[24:25]
	v_add_f64 v[22:23], v[22:23], -v[26:27]
	v_fma_f64 v[26:27], v[24:25], v[24:25], -v[39:40]
	v_add_f64 v[41:42], v[22:23], v[22:23]
	v_fma_f64 v[26:27], v[24:25], v[41:42], v[26:27]
	v_add_f64 v[41:42], v[39:40], v[26:27]
	v_fma_f64 v[43:44], v[41:42], s[22:23], v[2:3]
	v_add_f64 v[39:40], v[41:42], -v[39:40]
	v_mul_f64 v[49:50], v[24:25], v[41:42]
	v_fma_f64 v[43:44], v[41:42], v[43:44], s[28:29]
	v_add_f64 v[26:27], v[26:27], -v[39:40]
	v_fma_f64 v[43:44], v[41:42], v[43:44], s[30:31]
	v_fma_f64 v[43:44], v[41:42], v[43:44], s[34:35]
	;; [unrolled: 1-line block ×6, first 2 shown]
	v_mul_f64 v[45:46], v[41:42], v[43:44]
	v_fma_f64 v[39:40], v[41:42], v[43:44], -v[45:46]
	v_fma_f64 v[39:40], v[26:27], v[43:44], v[39:40]
	v_add_f64 v[43:44], v[45:46], v[39:40]
	v_add_f64 v[47:48], v[43:44], s[14:15]
	v_add_f64 v[45:46], v[43:44], -v[45:46]
	v_add_f64 v[51:52], v[47:48], s[44:45]
	v_add_f64 v[39:40], v[39:40], -v[45:46]
	v_fma_f64 v[45:46], v[41:42], v[24:25], -v[49:50]
	v_add_f64 v[43:44], v[43:44], -v[51:52]
	v_add_f64 v[39:40], v[39:40], s[46:47]
	v_fma_f64 v[41:42], v[41:42], v[22:23], v[45:46]
	v_ldexp_f64 v[22:23], v[22:23], 1
	v_add_f64 v[39:40], v[39:40], v[43:44]
	v_fma_f64 v[26:27], v[26:27], v[24:25], v[41:42]
	v_ldexp_f64 v[24:25], v[24:25], 1
	v_add_f64 v[41:42], v[47:48], v[39:40]
	v_add_f64 v[43:44], v[49:50], v[26:27]
	v_add_f64 v[45:46], v[47:48], -v[41:42]
	v_mul_f64 v[47:48], v[43:44], v[41:42]
	v_add_f64 v[49:50], v[43:44], -v[49:50]
	v_add_f64 v[39:40], v[39:40], v[45:46]
	v_fma_f64 v[45:46], v[43:44], v[41:42], -v[47:48]
	v_add_f64 v[26:27], v[26:27], -v[49:50]
	v_fma_f64 v[39:40], v[43:44], v[39:40], v[45:46]
	v_fma_f64 v[26:27], v[26:27], v[41:42], v[39:40]
	v_frexp_exp_i32_f64_e32 v41, v[20:21]
	v_add_f64 v[39:40], v[47:48], v[26:27]
	v_subbrev_co_u32_e32 v45, vcc, 0, v41, vcc
	v_cvt_f64_i32_e32 v[45:46], v45
	v_add_f64 v[41:42], v[24:25], v[39:40]
	v_add_f64 v[43:44], v[39:40], -v[47:48]
	v_mul_f64 v[47:48], v[45:46], s[48:49]
	v_add_f64 v[24:25], v[41:42], -v[24:25]
	v_add_f64 v[26:27], v[26:27], -v[43:44]
	v_fma_f64 v[43:44], v[45:46], s[48:49], -v[47:48]
	v_add_f64 v[24:25], v[39:40], -v[24:25]
	v_add_f64 v[22:23], v[22:23], v[26:27]
	v_fma_f64 v[26:27], v[45:46], s[50:51], v[43:44]
	v_add_f64 v[22:23], v[22:23], v[24:25]
	v_add_f64 v[24:25], v[47:48], v[26:27]
	;; [unrolled: 1-line block ×3, first 2 shown]
	v_add_f64 v[47:48], v[24:25], -v[47:48]
	v_add_f64 v[43:44], v[24:25], v[39:40]
	v_add_f64 v[41:42], v[39:40], -v[41:42]
	v_add_f64 v[26:27], v[26:27], -v[47:48]
	;; [unrolled: 1-line block ×6, first 2 shown]
	v_add_f64 v[41:42], v[26:27], v[22:23]
	v_add_f64 v[24:25], v[24:25], -v[49:50]
	v_add_f64 v[24:25], v[39:40], v[24:25]
	v_add_f64 v[39:40], v[41:42], -v[26:27]
	;; [unrolled: 2-line block ×3, first 2 shown]
	v_add_f64 v[22:23], v[22:23], -v[39:40]
	v_add_f64 v[45:46], v[43:44], v[24:25]
	v_add_f64 v[26:27], v[26:27], -v[41:42]
	v_add_f64 v[39:40], v[45:46], -v[43:44]
	v_add_f64 v[22:23], v[22:23], v[26:27]
	v_add_f64 v[24:25], v[24:25], -v[39:40]
	v_add_f64 v[22:23], v[22:23], v[24:25]
	v_add_f64 v[24:25], v[45:46], v[22:23]
	v_add_f64 v[39:40], v[24:25], -v[45:46]
	v_mul_f64 v[26:27], v[18:19], v[24:25]
	v_add_f64 v[22:23], v[22:23], -v[39:40]
	v_fma_f64 v[24:25], v[18:19], v[24:25], -v[26:27]
	v_cmp_class_f64_e64 vcc, v[26:27], s82
	v_fma_f64 v[24:25], v[18:19], v[22:23], v[24:25]
	v_add_f64 v[39:40], v[26:27], v[24:25]
	v_cndmask_b32_e32 v23, v40, v27, vcc
	v_cndmask_b32_e32 v22, v39, v26, vcc
	v_mul_f64 v[41:42], v[22:23], s[16:17]
	v_add_f64 v[26:27], v[39:40], -v[26:27]
	v_cmp_neq_f64_e64 vcc, |v[22:23]|, s[74:75]
	v_cmp_nlt_f64_e64 s[2:3], s[76:77], v[22:23]
	v_cmp_ngt_f64_e64 s[4:5], s[78:79], v[22:23]
	v_rndne_f64_e32 v[41:42], v[41:42]
	v_add_f64 v[24:25], v[24:25], -v[26:27]
	v_fma_f64 v[43:44], v[41:42], s[52:53], v[22:23]
	v_cndmask_b32_e32 v23, 0, v25, vcc
	v_cndmask_b32_e32 v22, 0, v24, vcc
	s_and_b64 vcc, s[4:5], s[2:3]
	v_fma_f64 v[43:44], v[41:42], s[54:55], v[43:44]
	v_cvt_i32_f64_e32 v41, v[41:42]
	v_fma_f64 v[45:46], v[43:44], s[56:57], v[12:13]
	v_fma_f64 v[45:46], v[43:44], v[45:46], s[58:59]
	v_fma_f64 v[45:46], v[43:44], v[45:46], s[60:61]
	v_fma_f64 v[45:46], v[43:44], v[45:46], s[62:63]
	v_fma_f64 v[45:46], v[43:44], v[45:46], s[64:65]
	v_fma_f64 v[45:46], v[43:44], v[45:46], s[66:67]
	v_fma_f64 v[45:46], v[43:44], v[45:46], s[68:69]
	v_fma_f64 v[45:46], v[43:44], v[45:46], s[70:71]
	v_fma_f64 v[45:46], v[43:44], v[45:46], s[72:73]
	v_fma_f64 v[45:46], v[43:44], v[45:46], 1.0
	v_fma_f64 v[43:44], v[43:44], v[45:46], 1.0
	v_ldexp_f64 v[39:40], v[43:44], v41
	v_cndmask_b32_e64 v26, v31, v40, s[2:3]
	s_xor_b64 s[2:3], s[12:13], s[18:19]
	v_cndmask_b32_e64 v25, 0, v26, s[4:5]
	v_cndmask_b32_e64 v26, v31, 0, s[2:3]
	v_cmp_neq_f64_e64 s[2:3], |v[20:21]|, 1.0
	v_cndmask_b32_e32 v24, 0, v39, vcc
	v_fma_f64 v[22:23], v[24:25], v[22:23], v[24:25]
	v_cmp_class_f64_e64 vcc, v[24:25], s82
	v_cmp_class_f64_e64 s[4:5], v[20:21], s82
	v_cndmask_b32_e64 v26, v30, v26, s[2:3]
	v_cmp_class_f64_e64 s[2:3], v[18:19], s82
	v_cndmask_b32_e32 v23, v23, v25, vcc
	v_and_b32_e32 v23, 0x7fffffff, v23
	v_cndmask_b32_e32 v22, v22, v24, vcc
	s_or_b64 vcc, s[20:21], s[4:5]
	v_cndmask_b32_e64 v25, v31, 0, s[6:7]
	v_cndmask_b32_e64 v23, v23, v26, s[2:3]
	s_or_b64 s[2:3], vcc, s[2:3]
	v_cndmask_b32_e64 v22, v22, 0, s[2:3]
	v_cmp_lt_f64_e64 s[2:3], 0, v[14:15]
	v_cndmask_b32_e32 v23, v23, v25, vcc
	v_cmp_o_f64_e64 vcc, |v[20:21]|, v[18:19]
	v_cndmask_b32_e64 v18, 0, 1, s[2:3]
	v_cmp_gt_f64_e64 s[2:3], 0, v[14:15]
	v_cndmask_b32_e32 v19, v32, v23, vcc
	v_subbrev_co_u32_e64 v14, s[2:3], 0, v18, s[2:3]
	v_cvt_f64_i32_e32 v[14:15], v14
	v_cndmask_b32_e32 v18, 0, v22, vcc
	v_mul_f64 v[14:15], v[18:19], v[14:15]
	v_mul_f64 v[14:15], v[16:17], v[14:15]
	v_div_scale_f64 v[18:19], s[2:3], v[8:9], v[8:9], v[14:15]
	v_div_scale_f64 v[24:25], vcc, v[14:15], v[8:9], v[14:15]
	v_rcp_f64_e32 v[20:21], v[18:19]
	v_fma_f64 v[22:23], -v[18:19], v[20:21], 1.0
	v_fma_f64 v[20:21], v[20:21], v[22:23], v[20:21]
	v_fma_f64 v[22:23], -v[18:19], v[20:21], 1.0
	v_fma_f64 v[20:21], v[20:21], v[22:23], v[20:21]
	v_mul_f64 v[22:23], v[24:25], v[20:21]
	v_fma_f64 v[18:19], -v[18:19], v[22:23], v[24:25]
	v_div_fmas_f64 v[18:19], v[18:19], v[20:21], v[22:23]
	v_div_fixup_f64 v[18:19], v[18:19], v[8:9], v[14:15]
	s_branch .LBB22_3
.LBB22_6:
	s_endpgm
	.section	.rodata,"a",@progbits
	.p2align	6, 0x0
	.amdhsa_kernel _ZN2at6native12_GLOBAL__N_131pdist_backward_kernel_cuda_implIdNS1_5distsIdE6lt_twoEEEvPT_PKS6_S9_S9_llllS6_dd
		.amdhsa_group_segment_fixed_size 0
		.amdhsa_private_segment_fixed_size 0
		.amdhsa_kernarg_size 344
		.amdhsa_user_sgpr_count 6
		.amdhsa_user_sgpr_private_segment_buffer 1
		.amdhsa_user_sgpr_dispatch_ptr 0
		.amdhsa_user_sgpr_queue_ptr 0
		.amdhsa_user_sgpr_kernarg_segment_ptr 1
		.amdhsa_user_sgpr_dispatch_id 0
		.amdhsa_user_sgpr_flat_scratch_init 0
		.amdhsa_user_sgpr_private_segment_size 0
		.amdhsa_uses_dynamic_stack 0
		.amdhsa_system_sgpr_private_segment_wavefront_offset 0
		.amdhsa_system_sgpr_workgroup_id_x 1
		.amdhsa_system_sgpr_workgroup_id_y 1
		.amdhsa_system_sgpr_workgroup_id_z 0
		.amdhsa_system_sgpr_workgroup_info 0
		.amdhsa_system_vgpr_workitem_id 1
		.amdhsa_next_free_vgpr 61
		.amdhsa_next_free_sgpr 83
		.amdhsa_reserve_vcc 1
		.amdhsa_reserve_flat_scratch 0
		.amdhsa_float_round_mode_32 0
		.amdhsa_float_round_mode_16_64 0
		.amdhsa_float_denorm_mode_32 3
		.amdhsa_float_denorm_mode_16_64 3
		.amdhsa_dx10_clamp 1
		.amdhsa_ieee_mode 1
		.amdhsa_fp16_overflow 0
		.amdhsa_exception_fp_ieee_invalid_op 0
		.amdhsa_exception_fp_denorm_src 0
		.amdhsa_exception_fp_ieee_div_zero 0
		.amdhsa_exception_fp_ieee_overflow 0
		.amdhsa_exception_fp_ieee_underflow 0
		.amdhsa_exception_fp_ieee_inexact 0
		.amdhsa_exception_int_div_zero 0
	.end_amdhsa_kernel
	.section	.text._ZN2at6native12_GLOBAL__N_131pdist_backward_kernel_cuda_implIdNS1_5distsIdE6lt_twoEEEvPT_PKS6_S9_S9_llllS6_dd,"axG",@progbits,_ZN2at6native12_GLOBAL__N_131pdist_backward_kernel_cuda_implIdNS1_5distsIdE6lt_twoEEEvPT_PKS6_S9_S9_llllS6_dd,comdat
.Lfunc_end22:
	.size	_ZN2at6native12_GLOBAL__N_131pdist_backward_kernel_cuda_implIdNS1_5distsIdE6lt_twoEEEvPT_PKS6_S9_S9_llllS6_dd, .Lfunc_end22-_ZN2at6native12_GLOBAL__N_131pdist_backward_kernel_cuda_implIdNS1_5distsIdE6lt_twoEEEvPT_PKS6_S9_S9_llllS6_dd
                                        ; -- End function
	.set _ZN2at6native12_GLOBAL__N_131pdist_backward_kernel_cuda_implIdNS1_5distsIdE6lt_twoEEEvPT_PKS6_S9_S9_llllS6_dd.num_vgpr, 61
	.set _ZN2at6native12_GLOBAL__N_131pdist_backward_kernel_cuda_implIdNS1_5distsIdE6lt_twoEEEvPT_PKS6_S9_S9_llllS6_dd.num_agpr, 0
	.set _ZN2at6native12_GLOBAL__N_131pdist_backward_kernel_cuda_implIdNS1_5distsIdE6lt_twoEEEvPT_PKS6_S9_S9_llllS6_dd.numbered_sgpr, 83
	.set _ZN2at6native12_GLOBAL__N_131pdist_backward_kernel_cuda_implIdNS1_5distsIdE6lt_twoEEEvPT_PKS6_S9_S9_llllS6_dd.num_named_barrier, 0
	.set _ZN2at6native12_GLOBAL__N_131pdist_backward_kernel_cuda_implIdNS1_5distsIdE6lt_twoEEEvPT_PKS6_S9_S9_llllS6_dd.private_seg_size, 0
	.set _ZN2at6native12_GLOBAL__N_131pdist_backward_kernel_cuda_implIdNS1_5distsIdE6lt_twoEEEvPT_PKS6_S9_S9_llllS6_dd.uses_vcc, 1
	.set _ZN2at6native12_GLOBAL__N_131pdist_backward_kernel_cuda_implIdNS1_5distsIdE6lt_twoEEEvPT_PKS6_S9_S9_llllS6_dd.uses_flat_scratch, 0
	.set _ZN2at6native12_GLOBAL__N_131pdist_backward_kernel_cuda_implIdNS1_5distsIdE6lt_twoEEEvPT_PKS6_S9_S9_llllS6_dd.has_dyn_sized_stack, 0
	.set _ZN2at6native12_GLOBAL__N_131pdist_backward_kernel_cuda_implIdNS1_5distsIdE6lt_twoEEEvPT_PKS6_S9_S9_llllS6_dd.has_recursion, 0
	.set _ZN2at6native12_GLOBAL__N_131pdist_backward_kernel_cuda_implIdNS1_5distsIdE6lt_twoEEEvPT_PKS6_S9_S9_llllS6_dd.has_indirect_call, 0
	.section	.AMDGPU.csdata,"",@progbits
; Kernel info:
; codeLenInByte = 4544
; TotalNumSgprs: 87
; NumVgprs: 61
; ScratchSize: 0
; MemoryBound: 0
; FloatMode: 240
; IeeeMode: 1
; LDSByteSize: 0 bytes/workgroup (compile time only)
; SGPRBlocks: 10
; VGPRBlocks: 15
; NumSGPRsForWavesPerEU: 87
; NumVGPRsForWavesPerEU: 61
; Occupancy: 4
; WaveLimiterHint : 0
; COMPUTE_PGM_RSRC2:SCRATCH_EN: 0
; COMPUTE_PGM_RSRC2:USER_SGPR: 6
; COMPUTE_PGM_RSRC2:TRAP_HANDLER: 0
; COMPUTE_PGM_RSRC2:TGID_X_EN: 1
; COMPUTE_PGM_RSRC2:TGID_Y_EN: 1
; COMPUTE_PGM_RSRC2:TGID_Z_EN: 0
; COMPUTE_PGM_RSRC2:TIDIG_COMP_CNT: 1
	.section	.text._ZN2at6native12_GLOBAL__N_131pdist_backward_kernel_cuda_implIdNS1_5distsIdE3twoEEEvPT_PKS6_S9_S9_llllS6_dd,"axG",@progbits,_ZN2at6native12_GLOBAL__N_131pdist_backward_kernel_cuda_implIdNS1_5distsIdE3twoEEEvPT_PKS6_S9_S9_llllS6_dd,comdat
	.globl	_ZN2at6native12_GLOBAL__N_131pdist_backward_kernel_cuda_implIdNS1_5distsIdE3twoEEEvPT_PKS6_S9_S9_llllS6_dd ; -- Begin function _ZN2at6native12_GLOBAL__N_131pdist_backward_kernel_cuda_implIdNS1_5distsIdE3twoEEEvPT_PKS6_S9_S9_llllS6_dd
	.p2align	8
	.type	_ZN2at6native12_GLOBAL__N_131pdist_backward_kernel_cuda_implIdNS1_5distsIdE3twoEEEvPT_PKS6_S9_S9_llllS6_dd,@function
_ZN2at6native12_GLOBAL__N_131pdist_backward_kernel_cuda_implIdNS1_5distsIdE3twoEEEvPT_PKS6_S9_S9_llllS6_dd: ; @_ZN2at6native12_GLOBAL__N_131pdist_backward_kernel_cuda_implIdNS1_5distsIdE3twoEEEvPT_PKS6_S9_S9_llllS6_dd
; %bb.0:
	s_load_dword s0, s[4:5], 0x64
	s_load_dwordx16 s[8:23], s[4:5], 0x0
	s_add_u32 s2, s4, 0x58
	v_mov_b32_e32 v2, v0
	s_addc_u32 s3, s5, 0
	v_mov_b32_e32 v3, 0
	s_waitcnt lgkmcnt(0)
	s_and_b32 s1, s0, 0xffff
	v_mov_b32_e32 v0, s6
	v_mad_u64_u32 v[2:3], s[24:25], s1, v0, v[2:3]
	v_cmp_gt_i64_e32 vcc, s[22:23], v[2:3]
	s_and_saveexec_b64 s[22:23], vcc
	s_cbranch_execz .LBB23_6
; %bb.1:
	s_lshr_b32 s6, s0, 16
	s_mul_i32 s7, s7, s6
	v_add_u32_e32 v4, s7, v1
	v_ashrrev_i32_e32 v5, 31, v4
	v_cmp_gt_i64_e32 vcc, s[20:21], v[4:5]
	s_and_b64 exec, exec, vcc
	s_cbranch_execz .LBB23_6
; %bb.2:
	v_lshlrev_b64 v[0:1], 1, v[2:3]
	s_load_dwordx4 s[24:27], s[4:5], 0x48
	v_cvt_f64_u32_e32 v[6:7], v1
	v_cvt_f64_u32_e32 v[0:1], v0
	s_mov_b32 s0, 0
	s_brev_b32 s1, 8
	v_ldexp_f64 v[6:7], v[6:7], 32
	v_lshlrev_b64 v[12:13], 3, v[2:3]
	v_mov_b32_e32 v16, s15
	s_movk_i32 s7, 0xffe0
	v_lshlrev_b64 v[4:5], 3, v[4:5]
	v_mov_b32_e32 v21, s13
	v_mov_b32_e32 v20, s9
	;; [unrolled: 1-line block ×3, first 2 shown]
	v_add_f64 v[0:1], v[6:7], v[0:1]
	v_mov_b32_e32 v6, 0x100
	s_waitcnt lgkmcnt(0)
	v_add_f64 v[0:1], s[26:27], -v[0:1]
	v_cmp_gt_f64_e32 vcc, s[0:1], v[0:1]
	v_cndmask_b32_e32 v6, 0, v6, vcc
	v_ldexp_f64 v[6:7], v[0:1], v6
	v_rsq_f64_e32 v[0:1], v[6:7]
	v_mul_f64 v[8:9], v[6:7], v[0:1]
	v_mul_f64 v[0:1], v[0:1], 0.5
	v_fma_f64 v[10:11], -v[0:1], v[8:9], 0.5
	v_fma_f64 v[8:9], v[8:9], v[10:11], v[8:9]
	v_fma_f64 v[10:11], v[0:1], v[10:11], v[0:1]
	v_add_co_u32_e64 v0, s[0:1], s14, v12
	v_addc_co_u32_e64 v1, s[0:1], v16, v13, s[0:1]
	global_load_dwordx2 v[0:1], v[0:1], off
	s_mov_b32 s0, 0
	v_fma_f64 v[14:15], -v[8:9], v[8:9], v[6:7]
	s_mov_b32 s1, 0xc1f00000
	v_mov_b32_e32 v16, s19
	v_fma_f64 v[8:9], v[14:15], v[10:11], v[8:9]
	v_fma_f64 v[12:13], -v[8:9], v[8:9], v[6:7]
	v_fma_f64 v[8:9], v[12:13], v[10:11], v[8:9]
	v_mov_b32_e32 v10, 0xffffff80
	v_mov_b32_e32 v11, 0x260
	v_cndmask_b32_e32 v10, 0, v10, vcc
	v_cmp_class_f64_e32 vcc, v[6:7], v11
	v_mul_lo_u32 v11, v3, s16
	v_mul_lo_u32 v12, v2, s17
	v_mov_b32_e32 v13, s13
	v_ldexp_f64 v[8:9], v[8:9], v10
	v_mov_b32_e32 v10, s11
	v_cndmask_b32_e32 v7, v9, v7, vcc
	v_cndmask_b32_e32 v6, v8, v6, vcc
	v_add_f64 v[6:7], s[24:25], -v[6:7]
	v_mad_u64_u32 v[8:9], s[4:5], v2, s16, 0
	s_lshl_b64 s[4:5], s[20:21], 3
	v_mov_b32_e32 v18, s5
	v_add3_u32 v9, v9, v12, v11
	v_lshlrev_b64 v[8:9], 3, v[8:9]
	v_trunc_f64_e32 v[6:7], v[6:7]
	v_ldexp_f64 v[14:15], v[6:7], s7
	s_load_dword s7, s[2:3], 0x4
	s_mov_b64 s[2:3], 0
	s_waitcnt lgkmcnt(0)
	s_mul_i32 s6, s7, s6
	s_ashr_i32 s7, s6, 31
	v_floor_f64_e32 v[14:15], v[14:15]
	v_fma_f64 v[11:12], v[14:15], s[0:1], v[6:7]
	v_add_co_u32_e32 v6, vcc, s10, v8
	v_addc_co_u32_e32 v7, vcc, v10, v9, vcc
	global_load_dwordx2 v[6:7], v[6:7], off
	v_cvt_i32_f64_e32 v15, v[14:15]
	s_waitcnt vmcnt(1)
	v_cmp_neq_f64_e64 s[0:1], 0, v[0:1]
	v_cvt_u32_f64_e32 v14, v[11:12]
	v_mul_lo_u32 v12, s20, v15
	v_mul_lo_u32 v19, s18, v15
	;; [unrolled: 1-line block ×3, first 2 shown]
	v_mad_u64_u32 v[8:9], s[10:11], s20, v14, 0
	v_add_co_u32_e32 v24, vcc, 1, v14
	v_mul_lo_u32 v23, s19, v14
	v_mad_u64_u32 v[10:11], s[10:11], s18, v14, 0
	v_addc_co_u32_e32 v25, vcc, 0, v15, vcc
	v_sub_co_u32_e32 v26, vcc, s18, v14
	v_subb_co_u32_e32 v27, vcc, v16, v15, vcc
	v_mul_lo_u32 v28, v25, v14
	v_add3_u32 v9, v9, v12, v17
	v_mad_u64_u32 v[16:17], s[10:11], v24, v14, 0
	v_mul_lo_u32 v12, v24, v15
	v_add3_u32 v11, v11, v19, v23
	v_add_co_u32_e32 v19, vcc, -2, v26
	v_addc_co_u32_e32 v23, vcc, -1, v27, vcc
	v_add3_u32 v12, v17, v12, v28
	v_sub_co_u32_e32 v17, vcc, v2, v10
	v_subb_co_u32_e32 v27, vcc, v3, v11, vcc
	v_lshrrev_b32_e32 v2, 31, v12
	v_lshlrev_b64 v[8:9], 3, v[8:9]
	v_add_co_u32_e32 v2, vcc, v16, v2
	v_addc_co_u32_e32 v3, vcc, 0, v12, vcc
	v_add_co_u32_e32 v12, vcc, s12, v8
	v_addc_co_u32_e32 v13, vcc, v13, v9, vcc
	v_ashrrev_i64 v[10:11], 1, v[2:3]
	v_add_co_u32_e32 v2, vcc, s4, v12
	v_addc_co_u32_e32 v3, vcc, v13, v18, vcc
	v_add_co_u32_e32 v8, vcc, v12, v4
	v_addc_co_u32_e32 v9, vcc, v13, v5, vcc
	;; [unrolled: 2-line block ×4, first 2 shown]
	v_mad_u64_u32 v[14:15], s[4:5], v16, s18, v[14:15]
	v_mul_lo_u32 v18, v16, s19
	v_mul_lo_u32 v24, v17, s18
	;; [unrolled: 1-line block ×4, first 2 shown]
	v_mad_u64_u32 v[16:17], s[4:5], v10, s20, 0
	v_mul_lo_u32 v26, v19, s19
	v_mul_lo_u32 v23, v23, s18
	v_mad_u64_u32 v[10:11], s[4:5], v19, s18, v[10:11]
	v_add3_u32 v15, v24, v15, v18
	v_mul_lo_u32 v24, v14, s21
	v_mad_u64_u32 v[18:19], s[4:5], v14, s20, 0
	v_add3_u32 v17, v17, v27, v25
	v_mul_lo_u32 v25, v15, s20
	v_add3_u32 v23, v23, v11, v26
	v_mul_lo_u32 v26, s21, v10
	v_mad_u64_u32 v[10:11], s[4:5], s20, v10, 0
	v_mul_lo_u32 v23, s20, v23
	v_lshlrev_b64 v[14:15], 3, v[16:17]
	v_add3_u32 v19, v19, v24, v25
	v_add_co_u32_e32 v14, vcc, s12, v14
	v_lshlrev_b64 v[16:17], 3, v[18:19]
	v_addc_co_u32_e32 v15, vcc, v21, v15, vcc
	v_add3_u32 v11, v11, v23, v26
	v_lshlrev_b64 v[10:11], 3, v[10:11]
	v_add_co_u32_e32 v16, vcc, s8, v16
	v_addc_co_u32_e32 v17, vcc, v20, v17, vcc
	v_add_co_u32_e32 v18, vcc, s8, v10
	v_addc_co_u32_e32 v19, vcc, v22, v11, vcc
	s_lshl_b64 s[4:5], s[6:7], 3
	s_branch .LBB23_4
.LBB23_3:                               ;   in Loop: Header=BB23_4 Depth=1
	s_or_b64 exec, exec, s[6:7]
	v_add_co_u32_e32 v20, vcc, v18, v4
	v_addc_co_u32_e32 v21, vcc, v19, v5, vcc
	v_add_co_u32_e32 v22, vcc, v16, v4
	v_addc_co_u32_e32 v23, vcc, v17, v5, vcc
	global_store_dwordx2 v[22:23], v[10:11], off
	v_mov_b32_e32 v22, s5
	v_add_co_u32_e32 v8, vcc, s4, v8
	v_addc_co_u32_e32 v9, vcc, v9, v22, vcc
	v_cmp_ge_u64_e32 vcc, v[8:9], v[2:3]
	v_xor_b32_e32 v11, 0x80000000, v11
	s_or_b64 s[2:3], vcc, s[2:3]
	v_add_co_u32_e32 v4, vcc, s4, v4
	v_addc_co_u32_e32 v5, vcc, v5, v22, vcc
	global_store_dwordx2 v[20:21], v[10:11], off
	s_andn2_b64 exec, exec, s[2:3]
	s_cbranch_execz .LBB23_6
.LBB23_4:                               ; =>This Inner Loop Header: Depth=1
	v_mov_b32_e32 v10, 0
	v_mov_b32_e32 v11, 0
	s_and_saveexec_b64 s[6:7], s[0:1]
	s_cbranch_execz .LBB23_3
; %bb.5:                                ;   in Loop: Header=BB23_4 Depth=1
	v_add_co_u32_e32 v10, vcc, v14, v4
	v_addc_co_u32_e32 v11, vcc, v15, v5, vcc
	v_add_co_u32_e32 v20, vcc, v12, v4
	v_addc_co_u32_e32 v21, vcc, v13, v5, vcc
	global_load_dwordx2 v[22:23], v[20:21], off
	global_load_dwordx2 v[24:25], v[10:11], off
	s_waitcnt vmcnt(0)
	v_add_f64 v[10:11], v[22:23], -v[24:25]
	v_mul_f64 v[10:11], v[6:7], v[10:11]
	v_div_scale_f64 v[20:21], s[8:9], v[0:1], v[0:1], v[10:11]
	v_div_scale_f64 v[26:27], vcc, v[10:11], v[0:1], v[10:11]
	v_rcp_f64_e32 v[22:23], v[20:21]
	v_fma_f64 v[24:25], -v[20:21], v[22:23], 1.0
	v_fma_f64 v[22:23], v[22:23], v[24:25], v[22:23]
	v_fma_f64 v[24:25], -v[20:21], v[22:23], 1.0
	v_fma_f64 v[22:23], v[22:23], v[24:25], v[22:23]
	v_mul_f64 v[24:25], v[26:27], v[22:23]
	v_fma_f64 v[20:21], -v[20:21], v[24:25], v[26:27]
	v_div_fmas_f64 v[20:21], v[20:21], v[22:23], v[24:25]
	v_div_fixup_f64 v[10:11], v[20:21], v[0:1], v[10:11]
	s_branch .LBB23_3
.LBB23_6:
	s_endpgm
	.section	.rodata,"a",@progbits
	.p2align	6, 0x0
	.amdhsa_kernel _ZN2at6native12_GLOBAL__N_131pdist_backward_kernel_cuda_implIdNS1_5distsIdE3twoEEEvPT_PKS6_S9_S9_llllS6_dd
		.amdhsa_group_segment_fixed_size 0
		.amdhsa_private_segment_fixed_size 0
		.amdhsa_kernarg_size 344
		.amdhsa_user_sgpr_count 6
		.amdhsa_user_sgpr_private_segment_buffer 1
		.amdhsa_user_sgpr_dispatch_ptr 0
		.amdhsa_user_sgpr_queue_ptr 0
		.amdhsa_user_sgpr_kernarg_segment_ptr 1
		.amdhsa_user_sgpr_dispatch_id 0
		.amdhsa_user_sgpr_flat_scratch_init 0
		.amdhsa_user_sgpr_private_segment_size 0
		.amdhsa_uses_dynamic_stack 0
		.amdhsa_system_sgpr_private_segment_wavefront_offset 0
		.amdhsa_system_sgpr_workgroup_id_x 1
		.amdhsa_system_sgpr_workgroup_id_y 1
		.amdhsa_system_sgpr_workgroup_id_z 0
		.amdhsa_system_sgpr_workgroup_info 0
		.amdhsa_system_vgpr_workitem_id 1
		.amdhsa_next_free_vgpr 29
		.amdhsa_next_free_sgpr 28
		.amdhsa_reserve_vcc 1
		.amdhsa_reserve_flat_scratch 0
		.amdhsa_float_round_mode_32 0
		.amdhsa_float_round_mode_16_64 0
		.amdhsa_float_denorm_mode_32 3
		.amdhsa_float_denorm_mode_16_64 3
		.amdhsa_dx10_clamp 1
		.amdhsa_ieee_mode 1
		.amdhsa_fp16_overflow 0
		.amdhsa_exception_fp_ieee_invalid_op 0
		.amdhsa_exception_fp_denorm_src 0
		.amdhsa_exception_fp_ieee_div_zero 0
		.amdhsa_exception_fp_ieee_overflow 0
		.amdhsa_exception_fp_ieee_underflow 0
		.amdhsa_exception_fp_ieee_inexact 0
		.amdhsa_exception_int_div_zero 0
	.end_amdhsa_kernel
	.section	.text._ZN2at6native12_GLOBAL__N_131pdist_backward_kernel_cuda_implIdNS1_5distsIdE3twoEEEvPT_PKS6_S9_S9_llllS6_dd,"axG",@progbits,_ZN2at6native12_GLOBAL__N_131pdist_backward_kernel_cuda_implIdNS1_5distsIdE3twoEEEvPT_PKS6_S9_S9_llllS6_dd,comdat
.Lfunc_end23:
	.size	_ZN2at6native12_GLOBAL__N_131pdist_backward_kernel_cuda_implIdNS1_5distsIdE3twoEEEvPT_PKS6_S9_S9_llllS6_dd, .Lfunc_end23-_ZN2at6native12_GLOBAL__N_131pdist_backward_kernel_cuda_implIdNS1_5distsIdE3twoEEEvPT_PKS6_S9_S9_llllS6_dd
                                        ; -- End function
	.set _ZN2at6native12_GLOBAL__N_131pdist_backward_kernel_cuda_implIdNS1_5distsIdE3twoEEEvPT_PKS6_S9_S9_llllS6_dd.num_vgpr, 29
	.set _ZN2at6native12_GLOBAL__N_131pdist_backward_kernel_cuda_implIdNS1_5distsIdE3twoEEEvPT_PKS6_S9_S9_llllS6_dd.num_agpr, 0
	.set _ZN2at6native12_GLOBAL__N_131pdist_backward_kernel_cuda_implIdNS1_5distsIdE3twoEEEvPT_PKS6_S9_S9_llllS6_dd.numbered_sgpr, 28
	.set _ZN2at6native12_GLOBAL__N_131pdist_backward_kernel_cuda_implIdNS1_5distsIdE3twoEEEvPT_PKS6_S9_S9_llllS6_dd.num_named_barrier, 0
	.set _ZN2at6native12_GLOBAL__N_131pdist_backward_kernel_cuda_implIdNS1_5distsIdE3twoEEEvPT_PKS6_S9_S9_llllS6_dd.private_seg_size, 0
	.set _ZN2at6native12_GLOBAL__N_131pdist_backward_kernel_cuda_implIdNS1_5distsIdE3twoEEEvPT_PKS6_S9_S9_llllS6_dd.uses_vcc, 1
	.set _ZN2at6native12_GLOBAL__N_131pdist_backward_kernel_cuda_implIdNS1_5distsIdE3twoEEEvPT_PKS6_S9_S9_llllS6_dd.uses_flat_scratch, 0
	.set _ZN2at6native12_GLOBAL__N_131pdist_backward_kernel_cuda_implIdNS1_5distsIdE3twoEEEvPT_PKS6_S9_S9_llllS6_dd.has_dyn_sized_stack, 0
	.set _ZN2at6native12_GLOBAL__N_131pdist_backward_kernel_cuda_implIdNS1_5distsIdE3twoEEEvPT_PKS6_S9_S9_llllS6_dd.has_recursion, 0
	.set _ZN2at6native12_GLOBAL__N_131pdist_backward_kernel_cuda_implIdNS1_5distsIdE3twoEEEvPT_PKS6_S9_S9_llllS6_dd.has_indirect_call, 0
	.section	.AMDGPU.csdata,"",@progbits
; Kernel info:
; codeLenInByte = 1176
; TotalNumSgprs: 32
; NumVgprs: 29
; ScratchSize: 0
; MemoryBound: 0
; FloatMode: 240
; IeeeMode: 1
; LDSByteSize: 0 bytes/workgroup (compile time only)
; SGPRBlocks: 3
; VGPRBlocks: 7
; NumSGPRsForWavesPerEU: 32
; NumVGPRsForWavesPerEU: 29
; Occupancy: 8
; WaveLimiterHint : 0
; COMPUTE_PGM_RSRC2:SCRATCH_EN: 0
; COMPUTE_PGM_RSRC2:USER_SGPR: 6
; COMPUTE_PGM_RSRC2:TRAP_HANDLER: 0
; COMPUTE_PGM_RSRC2:TGID_X_EN: 1
; COMPUTE_PGM_RSRC2:TGID_Y_EN: 1
; COMPUTE_PGM_RSRC2:TGID_Z_EN: 0
; COMPUTE_PGM_RSRC2:TIDIG_COMP_CNT: 1
	.section	.text._ZN2at6native12_GLOBAL__N_131pdist_backward_kernel_cuda_implIdNS1_5distsIdE3infEEEvPT_PKS6_S9_S9_llllS6_dd,"axG",@progbits,_ZN2at6native12_GLOBAL__N_131pdist_backward_kernel_cuda_implIdNS1_5distsIdE3infEEEvPT_PKS6_S9_S9_llllS6_dd,comdat
	.globl	_ZN2at6native12_GLOBAL__N_131pdist_backward_kernel_cuda_implIdNS1_5distsIdE3infEEEvPT_PKS6_S9_S9_llllS6_dd ; -- Begin function _ZN2at6native12_GLOBAL__N_131pdist_backward_kernel_cuda_implIdNS1_5distsIdE3infEEEvPT_PKS6_S9_S9_llllS6_dd
	.p2align	8
	.type	_ZN2at6native12_GLOBAL__N_131pdist_backward_kernel_cuda_implIdNS1_5distsIdE3infEEEvPT_PKS6_S9_S9_llllS6_dd,@function
_ZN2at6native12_GLOBAL__N_131pdist_backward_kernel_cuda_implIdNS1_5distsIdE3infEEEvPT_PKS6_S9_S9_llllS6_dd: ; @_ZN2at6native12_GLOBAL__N_131pdist_backward_kernel_cuda_implIdNS1_5distsIdE3infEEEvPT_PKS6_S9_S9_llllS6_dd
; %bb.0:
	s_load_dword s2, s[4:5], 0x64
	s_load_dwordx16 s[8:23], s[4:5], 0x0
	s_add_u32 s0, s4, 0x58
	v_mov_b32_e32 v2, v0
	s_addc_u32 s1, s5, 0
	v_mov_b32_e32 v3, 0
	s_waitcnt lgkmcnt(0)
	s_and_b32 s3, s2, 0xffff
	v_mov_b32_e32 v0, s6
	v_mad_u64_u32 v[2:3], s[24:25], s3, v0, v[2:3]
	v_cmp_gt_i64_e32 vcc, s[22:23], v[2:3]
	s_and_saveexec_b64 s[22:23], vcc
	s_cbranch_execz .LBB24_4
; %bb.1:
	s_lshr_b32 s6, s2, 16
	s_mul_i32 s7, s7, s6
	v_add_u32_e32 v0, s7, v1
	v_ashrrev_i32_e32 v1, 31, v0
	v_cmp_gt_i64_e32 vcc, s[20:21], v[0:1]
	s_and_b64 exec, exec, vcc
	s_cbranch_execz .LBB24_4
; %bb.2:
	v_lshlrev_b64 v[4:5], 1, v[2:3]
	s_load_dwordx4 s[24:27], s[4:5], 0x48
	v_cvt_f64_u32_e32 v[5:6], v5
	v_cvt_f64_u32_e32 v[7:8], v4
	s_mov_b32 s2, 0
	s_brev_b32 s3, 8
	v_ldexp_f64 v[5:6], v[5:6], 32
	v_lshlrev_b64 v[13:14], 3, v[2:3]
	v_mov_b32_e32 v15, s15
	v_mov_b32_e32 v16, s11
	s_load_dword s7, s[0:1], 0x4
	v_mov_b32_e32 v21, s13
	v_mov_b32_e32 v26, s13
	s_lshl_b64 s[0:1], s[20:21], 3
	v_add_f64 v[4:5], v[5:6], v[7:8]
	v_mov_b32_e32 v6, 0x100
	v_lshlrev_b64 v[0:1], 3, v[0:1]
	s_waitcnt lgkmcnt(0)
	v_add_f64 v[4:5], s[26:27], -v[4:5]
	v_cmp_gt_f64_e32 vcc, s[2:3], v[4:5]
	s_movk_i32 s2, 0xffe0
	v_cndmask_b32_e32 v6, 0, v6, vcc
	v_ldexp_f64 v[4:5], v[4:5], v6
	v_rsq_f64_e32 v[6:7], v[4:5]
	v_mul_f64 v[8:9], v[4:5], v[6:7]
	v_mul_f64 v[6:7], v[6:7], 0.5
	v_fma_f64 v[10:11], -v[6:7], v[8:9], 0.5
	v_fma_f64 v[8:9], v[8:9], v[10:11], v[8:9]
	v_fma_f64 v[6:7], v[6:7], v[10:11], v[6:7]
	v_fma_f64 v[10:11], -v[8:9], v[8:9], v[4:5]
	v_fma_f64 v[8:9], v[10:11], v[6:7], v[8:9]
	v_fma_f64 v[10:11], -v[8:9], v[8:9], v[4:5]
	v_fma_f64 v[6:7], v[10:11], v[6:7], v[8:9]
	v_mov_b32_e32 v8, 0xffffff80
	v_mov_b32_e32 v9, 0x260
	v_cndmask_b32_e32 v8, 0, v8, vcc
	v_cmp_class_f64_e32 vcc, v[4:5], v9
	v_mul_lo_u32 v9, v3, s16
	v_mul_lo_u32 v10, v2, s17
	v_ldexp_f64 v[6:7], v[6:7], v8
	v_cndmask_b32_e32 v5, v7, v5, vcc
	v_cndmask_b32_e32 v4, v6, v4, vcc
	v_add_f64 v[4:5], s[24:25], -v[4:5]
	v_mad_u64_u32 v[7:8], s[4:5], v2, s16, 0
	v_add_co_u32_e32 v13, vcc, s14, v13
	v_add3_u32 v8, v8, v10, v9
	v_lshlrev_b64 v[7:8], 3, v[7:8]
	v_addc_co_u32_e32 v14, vcc, v15, v14, vcc
	v_trunc_f64_e32 v[5:6], v[4:5]
	v_add_co_u32_e32 v15, vcc, s10, v7
	v_addc_co_u32_e32 v16, vcc, v16, v8, vcc
	v_mov_b32_e32 v4, 0
	s_mov_b64 s[4:5], 0
	v_ldexp_f64 v[11:12], v[5:6], s2
	s_mov_b32 s2, 0
	s_mov_b32 s3, 0xc1f00000
	v_floor_f64_e32 v[11:12], v[11:12]
	v_fma_f64 v[5:6], v[11:12], s[2:3], v[5:6]
	v_cvt_i32_f64_e32 v11, v[11:12]
	v_mul_lo_u32 v8, s18, v11
	v_mul_lo_u32 v7, s20, v11
	v_cvt_u32_f64_e32 v10, v[5:6]
	v_mul_lo_u32 v12, s19, v10
	v_mad_u64_u32 v[5:6], s[2:3], s18, v10, 0
	v_add_co_u32_e32 v22, vcc, 1, v10
	v_addc_co_u32_e32 v23, vcc, 0, v11, vcc
	v_mul_lo_u32 v9, s21, v10
	v_mad_u64_u32 v[17:18], s[2:3], s20, v10, 0
	v_mul_lo_u32 v24, v23, v10
	v_mad_u64_u32 v[19:20], s[2:3], v22, v10, 0
	v_add3_u32 v25, v6, v8, v12
	v_mul_lo_u32 v6, v22, v11
	v_add3_u32 v18, v18, v7, v9
	v_sub_co_u32_e32 v5, vcc, v2, v5
	v_add3_u32 v20, v20, v6, v24
	global_load_dwordx2 v[6:7], v[13:14], off
	global_load_dwordx2 v[8:9], v[15:16], off
	v_subb_co_u32_e32 v14, vcc, v3, v25, vcc
	v_lshrrev_b32_e32 v2, 31, v20
	v_lshlrev_b64 v[12:13], 3, v[17:18]
	v_add_co_u32_e32 v2, vcc, v19, v2
	v_addc_co_u32_e32 v3, vcc, 0, v20, vcc
	v_add_co_u32_e32 v12, vcc, s12, v12
	v_ashrrev_i64 v[2:3], 1, v[2:3]
	v_addc_co_u32_e32 v13, vcc, v21, v13, vcc
	v_add_co_u32_e32 v5, vcc, v2, v5
	v_addc_co_u32_e32 v18, vcc, v3, v14, vcc
	v_add_co_u32_e32 v16, vcc, v22, v5
	v_addc_co_u32_e32 v17, vcc, v23, v18, vcc
	v_mul_lo_u32 v14, v17, s20
	v_mul_lo_u32 v15, v16, s21
	v_mad_u64_u32 v[2:3], s[2:3], v16, s20, 0
	v_mov_b32_e32 v19, s1
	v_mov_b32_e32 v24, s19
	v_add3_u32 v3, v3, v15, v14
	v_lshlrev_b64 v[2:3], 3, v[2:3]
	v_mul_lo_u32 v18, v18, s18
	v_add_co_u32_e32 v14, vcc, s12, v2
	v_addc_co_u32_e32 v15, vcc, v26, v3, vcc
	v_add_co_u32_e32 v2, vcc, s0, v12
	v_addc_co_u32_e32 v3, vcc, v13, v19, vcc
	v_sub_co_u32_e32 v19, vcc, s18, v10
	v_subb_co_u32_e32 v20, vcc, v24, v11, vcc
	v_add_co_u32_e32 v19, vcc, -2, v19
	v_mad_u64_u32 v[10:11], s[0:1], v5, s18, v[10:11]
	v_mul_lo_u32 v5, v5, s19
	v_addc_co_u32_e32 v20, vcc, -1, v20, vcc
	v_mad_u64_u32 v[16:17], s[0:1], v19, s18, v[16:17]
	v_mul_lo_u32 v21, v19, s19
	v_mul_lo_u32 v20, v20, s18
	v_add3_u32 v5, v18, v11, v5
	v_mul_lo_u32 v11, v10, s21
	v_mad_u64_u32 v[18:19], s[0:1], v10, s20, 0
	v_mul_lo_u32 v5, v5, s20
	v_add3_u32 v10, v20, v17, v21
	v_mul_lo_u32 v20, s21, v16
	v_mad_u64_u32 v[16:17], s[0:1], s20, v16, 0
	v_mul_lo_u32 v21, s20, v10
	v_add3_u32 v19, v19, v11, v5
	v_add_co_u32_e32 v10, vcc, v12, v0
	v_lshlrev_b64 v[18:19], 3, v[18:19]
	v_addc_co_u32_e32 v11, vcc, v13, v1, vcc
	v_add3_u32 v17, v17, v21, v20
	v_mov_b32_e32 v22, s9
	v_lshlrev_b64 v[20:21], 3, v[16:17]
	v_add_co_u32_e32 v16, vcc, s8, v18
	s_mul_i32 s2, s7, s6
	v_addc_co_u32_e32 v17, vcc, v22, v19, vcc
	v_mov_b32_e32 v23, s9
	s_ashr_i32 s3, s2, 31
	v_add_co_u32_e32 v18, vcc, s8, v20
	s_lshl_b64 s[6:7], s[2:3], 3
	v_addc_co_u32_e32 v19, vcc, v23, v21, vcc
	v_mov_b32_e32 v20, 0x3ff00000
.LBB24_3:                               ; =>This Inner Loop Header: Depth=1
	v_add_co_u32_e32 v21, vcc, v14, v0
	v_addc_co_u32_e32 v22, vcc, v15, v1, vcc
	v_add_co_u32_e32 v23, vcc, v12, v0
	v_addc_co_u32_e32 v24, vcc, v13, v1, vcc
	global_load_dwordx2 v[25:26], v[23:24], off
	global_load_dwordx2 v[27:28], v[21:22], off
	s_waitcnt vmcnt(0)
	v_add_f64 v[21:22], v[25:26], -v[27:28]
	v_cmp_lt_f64_e64 s[0:1], 0, v[21:22]
	v_cmp_eq_f64_e64 vcc, |v[21:22]|, v[6:7]
	v_cndmask_b32_e64 v23, 0, 1, s[0:1]
	v_cmp_gt_f64_e64 s[0:1], 0, v[21:22]
	v_cndmask_b32_e32 v5, 0, v20, vcc
	v_add_co_u32_e64 v21, s[2:3], v16, v0
	v_addc_co_u32_e64 v22, s[2:3], v17, v1, s[2:3]
	v_subbrev_co_u32_e64 v23, vcc, 0, v23, s[0:1]
	v_cvt_f64_i32_e32 v[23:24], v23
	v_add_co_u32_e64 v10, s[0:1], s6, v10
	v_mul_f64 v[23:24], v[8:9], v[23:24]
	v_mul_f64 v[23:24], v[23:24], v[4:5]
	v_mov_b32_e32 v5, s7
	v_addc_co_u32_e64 v11, s[0:1], v11, v5, s[0:1]
	v_cmp_ge_u64_e64 s[0:1], v[10:11], v[2:3]
	s_or_b64 s[4:5], s[0:1], s[4:5]
	global_store_dwordx2 v[21:22], v[23:24], off
	v_add_co_u32_e32 v21, vcc, v18, v0
	v_addc_co_u32_e32 v22, vcc, v19, v1, vcc
	v_add_co_u32_e32 v0, vcc, s6, v0
	v_xor_b32_e32 v24, 0x80000000, v24
	v_addc_co_u32_e32 v1, vcc, v1, v5, vcc
	global_store_dwordx2 v[21:22], v[23:24], off
	s_andn2_b64 exec, exec, s[4:5]
	s_cbranch_execnz .LBB24_3
.LBB24_4:
	s_endpgm
	.section	.rodata,"a",@progbits
	.p2align	6, 0x0
	.amdhsa_kernel _ZN2at6native12_GLOBAL__N_131pdist_backward_kernel_cuda_implIdNS1_5distsIdE3infEEEvPT_PKS6_S9_S9_llllS6_dd
		.amdhsa_group_segment_fixed_size 0
		.amdhsa_private_segment_fixed_size 0
		.amdhsa_kernarg_size 344
		.amdhsa_user_sgpr_count 6
		.amdhsa_user_sgpr_private_segment_buffer 1
		.amdhsa_user_sgpr_dispatch_ptr 0
		.amdhsa_user_sgpr_queue_ptr 0
		.amdhsa_user_sgpr_kernarg_segment_ptr 1
		.amdhsa_user_sgpr_dispatch_id 0
		.amdhsa_user_sgpr_flat_scratch_init 0
		.amdhsa_user_sgpr_private_segment_size 0
		.amdhsa_uses_dynamic_stack 0
		.amdhsa_system_sgpr_private_segment_wavefront_offset 0
		.amdhsa_system_sgpr_workgroup_id_x 1
		.amdhsa_system_sgpr_workgroup_id_y 1
		.amdhsa_system_sgpr_workgroup_id_z 0
		.amdhsa_system_sgpr_workgroup_info 0
		.amdhsa_system_vgpr_workitem_id 1
		.amdhsa_next_free_vgpr 29
		.amdhsa_next_free_sgpr 28
		.amdhsa_reserve_vcc 1
		.amdhsa_reserve_flat_scratch 0
		.amdhsa_float_round_mode_32 0
		.amdhsa_float_round_mode_16_64 0
		.amdhsa_float_denorm_mode_32 3
		.amdhsa_float_denorm_mode_16_64 3
		.amdhsa_dx10_clamp 1
		.amdhsa_ieee_mode 1
		.amdhsa_fp16_overflow 0
		.amdhsa_exception_fp_ieee_invalid_op 0
		.amdhsa_exception_fp_denorm_src 0
		.amdhsa_exception_fp_ieee_div_zero 0
		.amdhsa_exception_fp_ieee_overflow 0
		.amdhsa_exception_fp_ieee_underflow 0
		.amdhsa_exception_fp_ieee_inexact 0
		.amdhsa_exception_int_div_zero 0
	.end_amdhsa_kernel
	.section	.text._ZN2at6native12_GLOBAL__N_131pdist_backward_kernel_cuda_implIdNS1_5distsIdE3infEEEvPT_PKS6_S9_S9_llllS6_dd,"axG",@progbits,_ZN2at6native12_GLOBAL__N_131pdist_backward_kernel_cuda_implIdNS1_5distsIdE3infEEEvPT_PKS6_S9_S9_llllS6_dd,comdat
.Lfunc_end24:
	.size	_ZN2at6native12_GLOBAL__N_131pdist_backward_kernel_cuda_implIdNS1_5distsIdE3infEEEvPT_PKS6_S9_S9_llllS6_dd, .Lfunc_end24-_ZN2at6native12_GLOBAL__N_131pdist_backward_kernel_cuda_implIdNS1_5distsIdE3infEEEvPT_PKS6_S9_S9_llllS6_dd
                                        ; -- End function
	.set _ZN2at6native12_GLOBAL__N_131pdist_backward_kernel_cuda_implIdNS1_5distsIdE3infEEEvPT_PKS6_S9_S9_llllS6_dd.num_vgpr, 29
	.set _ZN2at6native12_GLOBAL__N_131pdist_backward_kernel_cuda_implIdNS1_5distsIdE3infEEEvPT_PKS6_S9_S9_llllS6_dd.num_agpr, 0
	.set _ZN2at6native12_GLOBAL__N_131pdist_backward_kernel_cuda_implIdNS1_5distsIdE3infEEEvPT_PKS6_S9_S9_llllS6_dd.numbered_sgpr, 28
	.set _ZN2at6native12_GLOBAL__N_131pdist_backward_kernel_cuda_implIdNS1_5distsIdE3infEEEvPT_PKS6_S9_S9_llllS6_dd.num_named_barrier, 0
	.set _ZN2at6native12_GLOBAL__N_131pdist_backward_kernel_cuda_implIdNS1_5distsIdE3infEEEvPT_PKS6_S9_S9_llllS6_dd.private_seg_size, 0
	.set _ZN2at6native12_GLOBAL__N_131pdist_backward_kernel_cuda_implIdNS1_5distsIdE3infEEEvPT_PKS6_S9_S9_llllS6_dd.uses_vcc, 1
	.set _ZN2at6native12_GLOBAL__N_131pdist_backward_kernel_cuda_implIdNS1_5distsIdE3infEEEvPT_PKS6_S9_S9_llllS6_dd.uses_flat_scratch, 0
	.set _ZN2at6native12_GLOBAL__N_131pdist_backward_kernel_cuda_implIdNS1_5distsIdE3infEEEvPT_PKS6_S9_S9_llllS6_dd.has_dyn_sized_stack, 0
	.set _ZN2at6native12_GLOBAL__N_131pdist_backward_kernel_cuda_implIdNS1_5distsIdE3infEEEvPT_PKS6_S9_S9_llllS6_dd.has_recursion, 0
	.set _ZN2at6native12_GLOBAL__N_131pdist_backward_kernel_cuda_implIdNS1_5distsIdE3infEEEvPT_PKS6_S9_S9_llllS6_dd.has_indirect_call, 0
	.section	.AMDGPU.csdata,"",@progbits
; Kernel info:
; codeLenInByte = 1128
; TotalNumSgprs: 32
; NumVgprs: 29
; ScratchSize: 0
; MemoryBound: 0
; FloatMode: 240
; IeeeMode: 1
; LDSByteSize: 0 bytes/workgroup (compile time only)
; SGPRBlocks: 3
; VGPRBlocks: 7
; NumSGPRsForWavesPerEU: 32
; NumVGPRsForWavesPerEU: 29
; Occupancy: 8
; WaveLimiterHint : 0
; COMPUTE_PGM_RSRC2:SCRATCH_EN: 0
; COMPUTE_PGM_RSRC2:USER_SGPR: 6
; COMPUTE_PGM_RSRC2:TRAP_HANDLER: 0
; COMPUTE_PGM_RSRC2:TGID_X_EN: 1
; COMPUTE_PGM_RSRC2:TGID_Y_EN: 1
; COMPUTE_PGM_RSRC2:TGID_Z_EN: 0
; COMPUTE_PGM_RSRC2:TIDIG_COMP_CNT: 1
	.section	.text._ZN2at6native12_GLOBAL__N_131pdist_backward_kernel_cuda_implIfNS1_5distsIfE1pEEEvPT_PKS6_S9_S9_llllS6_dd,"axG",@progbits,_ZN2at6native12_GLOBAL__N_131pdist_backward_kernel_cuda_implIfNS1_5distsIfE1pEEEvPT_PKS6_S9_S9_llllS6_dd,comdat
	.globl	_ZN2at6native12_GLOBAL__N_131pdist_backward_kernel_cuda_implIfNS1_5distsIfE1pEEEvPT_PKS6_S9_S9_llllS6_dd ; -- Begin function _ZN2at6native12_GLOBAL__N_131pdist_backward_kernel_cuda_implIfNS1_5distsIfE1pEEEvPT_PKS6_S9_S9_llllS6_dd
	.p2align	8
	.type	_ZN2at6native12_GLOBAL__N_131pdist_backward_kernel_cuda_implIfNS1_5distsIfE1pEEEvPT_PKS6_S9_S9_llllS6_dd,@function
_ZN2at6native12_GLOBAL__N_131pdist_backward_kernel_cuda_implIfNS1_5distsIfE1pEEEvPT_PKS6_S9_S9_llllS6_dd: ; @_ZN2at6native12_GLOBAL__N_131pdist_backward_kernel_cuda_implIfNS1_5distsIfE1pEEEvPT_PKS6_S9_S9_llllS6_dd
; %bb.0:
	s_load_dword s0, s[4:5], 0x64
	s_load_dwordx16 s[8:23], s[4:5], 0x0
	s_add_u32 s2, s4, 0x58
	v_mov_b32_e32 v2, v0
	s_addc_u32 s3, s5, 0
	v_mov_b32_e32 v3, 0
	s_waitcnt lgkmcnt(0)
	s_and_b32 s1, s0, 0xffff
	v_mov_b32_e32 v0, s6
	v_mad_u64_u32 v[4:5], s[24:25], s1, v0, v[2:3]
	v_cmp_gt_i64_e32 vcc, s[22:23], v[4:5]
	s_and_saveexec_b64 s[22:23], vcc
	s_cbranch_execz .LBB25_6
; %bb.1:
	s_lshr_b32 s6, s0, 16
	s_mul_i32 s7, s7, s6
	v_add_u32_e32 v2, s7, v1
	v_ashrrev_i32_e32 v3, 31, v2
	v_cmp_gt_i64_e32 vcc, s[20:21], v[2:3]
	s_and_b64 exec, exec, vcc
	s_cbranch_execz .LBB25_6
; %bb.2:
	v_lshlrev_b64 v[0:1], 1, v[4:5]
	s_load_dwordx4 s[24:27], s[4:5], 0x48
	s_load_dword s7, s[4:5], 0x40
	v_cvt_f64_u32_e32 v[6:7], v1
	v_cvt_f64_u32_e32 v[0:1], v0
	v_mov_b32_e32 v8, s15
	s_mov_b32 s0, 0
	v_ldexp_f64 v[6:7], v[6:7], 32
	s_brev_b32 s1, 8
	v_mul_lo_u32 v24, v5, s16
	v_mul_lo_u32 v25, v4, s17
	v_mov_b32_e32 v14, 0xffffff80
	v_mov_b32_e32 v26, s11
	;; [unrolled: 1-line block ×3, first 2 shown]
	s_mov_b32 s22, 0x3f2aaaab
	v_add_f64 v[0:1], v[6:7], v[0:1]
	v_lshlrev_b64 v[6:7], 2, v[4:5]
	s_mov_b32 s4, 0
	v_add_co_u32_e32 v6, vcc, s14, v6
	v_addc_co_u32_e32 v7, vcc, v8, v7, vcc
	global_load_dword v17, v[6:7], off
	s_waitcnt lgkmcnt(0)
	v_add_f64 v[0:1], s[26:27], -v[0:1]
	v_mov_b32_e32 v6, 0x100
	s_movk_i32 s14, 0xffe0
	s_mov_b32 s5, 0xc1f00000
	v_mov_b32_e32 v15, s13
	v_mov_b32_e32 v16, s13
	;; [unrolled: 1-line block ×3, first 2 shown]
	s_mov_b32 s23, 0x3f317218
	v_cmp_gt_f64_e32 vcc, s[0:1], v[0:1]
	v_mad_u64_u32 v[20:21], s[0:1], v4, s16, 0
	s_mov_b32 s26, 0x42b17218
	s_mov_b32 s27, 0x3fb8aa3b
	v_add3_u32 v21, v21, v25, v24
	s_mov_b32 s28, 0xc2ce8ed0
	s_load_dword s2, s[2:3], 0x4
	v_cndmask_b32_e32 v6, 0, v6, vcc
	v_ldexp_f64 v[6:7], v[0:1], v6
	v_cndmask_b32_e32 v14, 0, v14, vcc
	v_lshlrev_b64 v[2:3], 2, v[2:3]
	s_waitcnt lgkmcnt(0)
	s_mul_i32 s2, s2, s6
	s_ashr_i32 s3, s2, 31
	v_rsq_f64_e32 v[0:1], v[6:7]
	v_mul_f64 v[8:9], v[6:7], v[0:1]
	v_mul_f64 v[0:1], v[0:1], 0.5
	v_fma_f64 v[10:11], -v[0:1], v[8:9], 0.5
	v_fma_f64 v[18:19], v[8:9], v[10:11], v[8:9]
	v_fma_f64 v[8:9], v[0:1], v[10:11], v[0:1]
	v_mov_b32_e32 v10, 0x3ecccdef
	v_mov_b32_e32 v11, s19
	v_fma_f64 v[0:1], -v[18:19], v[18:19], v[6:7]
	v_fma_f64 v[22:23], v[0:1], v[8:9], v[18:19]
	v_lshlrev_b64 v[0:1], 2, v[20:21]
	v_add_f32_e64 v19, s7, -1.0
	v_add_co_u32_e64 v0, s[0:1], s10, v0
	v_addc_co_u32_e64 v1, s[0:1], v26, v1, s[0:1]
	v_cmp_class_f64_e64 s[0:1], v[6:7], v13
	v_fma_f64 v[20:21], -v[22:23], v[22:23], v[6:7]
	s_waitcnt vmcnt(0)
	v_cmp_neq_f32_e32 vcc, 1.0, v17
	v_cndmask_b32_e32 v19, 1.0, v19, vcc
	v_cmp_neq_f32_e32 vcc, 0, v19
	v_mov_b32_e32 v18, 0x3e91f4c4
	s_brev_b32 s10, -2
	v_fma_f64 v[8:9], v[20:21], v[8:9], v[22:23]
	v_cndmask_b32_e32 v20, 1.0, v17, vcc
	v_frexp_mant_f32_e64 v21, |v20|
	v_cmp_gt_f32_e32 vcc, s22, v21
	v_cndmask_b32_e64 v22, 1.0, 2.0, vcc
	v_mul_f32_e32 v21, v21, v22
	v_add_f32_e32 v22, 1.0, v21
	v_rcp_f32_e32 v13, v22
	v_ldexp_f64 v[8:9], v[8:9], v14
	v_add_f32_e32 v14, -1.0, v21
	v_add_f32_e32 v23, -1.0, v22
	v_sub_f32_e32 v21, v21, v23
	v_mul_f32_e32 v23, v14, v13
	v_mul_f32_e32 v24, v22, v23
	v_cndmask_b32_e64 v7, v9, v7, s[0:1]
	v_cndmask_b32_e64 v6, v8, v6, s[0:1]
	v_add_f64 v[6:7], s[24:25], -v[6:7]
	v_fma_f32 v8, v23, v22, -v24
	v_fmac_f32_e32 v8, v23, v21
	v_add_f32_e32 v9, v24, v8
	v_sub_f32_e32 v22, v14, v9
	v_sub_f32_e32 v21, v9, v24
	;; [unrolled: 1-line block ×4, first 2 shown]
	v_trunc_f64_e32 v[6:7], v[6:7]
	v_sub_f32_e32 v9, v14, v9
	v_add_f32_e32 v8, v8, v9
	v_add_f32_e32 v8, v22, v8
	v_mul_f32_e32 v14, v13, v8
	v_add_f32_e32 v13, v23, v14
	v_sub_f32_e32 v21, v13, v23
	v_mul_f32_e32 v22, v13, v13
	v_ldexp_f64 v[8:9], v[6:7], s14
	v_sub_f32_e32 v14, v14, v21
	v_fma_f32 v21, v13, v13, -v22
	v_add_f32_e32 v23, v14, v14
	v_fmac_f32_e32 v21, v13, v23
	v_add_f32_e32 v24, v22, v21
	v_fmac_f32_e32 v18, 0x3e76c4e1, v24
	v_sub_f32_e32 v23, v24, v22
	v_floor_f64_e32 v[8:9], v[8:9]
	v_mul_f32_e32 v22, v13, v24
	v_fma_f32 v18, v24, v18, v10
	v_sub_f32_e32 v21, v21, v23
	v_fma_f32 v23, v24, v13, -v22
	v_mul_f32_e32 v25, v24, v18
	v_fmac_f32_e32 v23, v24, v14
	v_fma_f32 v24, v24, v18, -v25
	v_fma_f64 v[6:7], v[8:9], s[4:5], v[6:7]
	v_cvt_i32_f64_e32 v9, v[8:9]
	v_fmac_f32_e32 v24, v21, v18
	v_add_f32_e32 v28, v25, v24
	v_sub_f32_e32 v18, v28, v25
	v_sub_f32_e32 v30, v24, v18
	v_mul_lo_u32 v18, s20, v9
	v_fmac_f32_e32 v23, v21, v13
	v_cvt_u32_f64_e32 v8, v[6:7]
	v_mul_lo_u32 v21, s18, v9
	v_add_f32_e32 v29, 0x3f2aaaaa, v28
	v_add_f32_e32 v31, 0xbf2aaaaa, v29
	v_mul_lo_u32 v26, s21, v8
	v_mad_u64_u32 v[6:7], s[0:1], s20, v8, 0
	v_mul_lo_u32 v27, s19, v8
	v_mad_u64_u32 v[24:25], s[0:1], s18, v8, 0
	v_add3_u32 v7, v7, v18, v26
	v_add_co_u32_e64 v26, s[0:1], 1, v8
	v_addc_co_u32_e64 v32, s[0:1], 0, v9, s[0:1]
	v_add3_u32 v18, v25, v21, v27
	v_sub_co_u32_e64 v24, s[0:1], v4, v24
	v_lshlrev_b64 v[6:7], 2, v[6:7]
	v_subb_co_u32_e64 v27, s[0:1], v5, v18, s[0:1]
	v_mad_u64_u32 v[4:5], s[0:1], v26, v8, 0
	v_add_co_u32_e64 v6, s[0:1], s12, v6
	v_mul_lo_u32 v25, v32, v8
	v_addc_co_u32_e64 v7, s[0:1], v15, v7, s[0:1]
	v_mul_lo_u32 v15, v26, v9
	v_sub_co_u32_e64 v18, s[0:1], s18, v8
	v_subb_co_u32_e64 v21, s[0:1], v11, v9, s[0:1]
	v_add3_u32 v5, v5, v15, v25
	v_lshrrev_b32_e32 v11, 31, v5
	v_add_co_u32_e64 v4, s[0:1], v4, v11
	v_addc_co_u32_e64 v5, s[0:1], 0, v5, s[0:1]
	v_ashrrev_i64 v[4:5], 1, v[4:5]
	v_ldexp_f32 v13, v13, 1
	v_add_co_u32_e64 v11, s[0:1], v4, v24
	v_addc_co_u32_e64 v15, s[0:1], v5, v27, s[0:1]
	v_add_co_u32_e64 v4, s[0:1], v26, v11
	v_addc_co_u32_e64 v5, s[0:1], v32, v15, s[0:1]
	v_mad_u64_u32 v[8:9], s[0:1], v11, s18, v[8:9]
	v_mul_lo_u32 v11, v11, s19
	v_mul_lo_u32 v15, v15, s18
	v_mul_lo_u32 v32, v5, s20
	v_mul_lo_u32 v33, v4, s21
	v_mad_u64_u32 v[24:25], s[0:1], v4, s20, 0
	v_add3_u32 v9, v15, v9, v11
	v_mul_lo_u32 v11, v8, s21
	v_mad_u64_u32 v[26:27], s[0:1], v8, s20, 0
	v_mul_lo_u32 v15, v9, s20
	v_add3_u32 v25, v25, v33, v32
	v_lshlrev_b64 v[8:9], 2, v[24:25]
	v_ldexp_f32 v14, v14, 1
	v_add_co_u32_e64 v8, s[0:1], s12, v8
	v_add3_u32 v27, v27, v11, v15
	v_addc_co_u32_e64 v9, s[0:1], v16, v9, s[0:1]
	v_lshlrev_b64 v[15:16], 2, v[26:27]
	s_movk_i32 s24, 0x204
	v_add_co_u32_e64 v11, s[0:1], s8, v15
	v_addc_co_u32_e64 v12, s[0:1], v12, v16, s[0:1]
	v_sub_f32_e32 v15, v28, v31
	v_add_f32_e32 v16, 0x31739010, v30
	v_add_f32_e32 v24, v16, v15
	v_cvt_f64_f32_e64 v[15:16], |v20|
	v_add_f32_e32 v25, v29, v24
	v_sub_f32_e32 v26, v29, v25
	v_add_f32_e32 v24, v24, v26
	v_frexp_exp_i32_f64_e32 v15, v[15:16]
	v_add_f32_e32 v26, v22, v23
	v_mul_f32_e32 v27, v26, v25
	v_fma_f32 v16, v26, v25, -v27
	v_sub_f32_e32 v22, v26, v22
	v_fmac_f32_e32 v16, v26, v24
	v_sub_f32_e32 v22, v23, v22
	v_fmac_f32_e32 v16, v22, v25
	v_subbrev_co_u32_e32 v15, vcc, 0, v15, vcc
	v_cvt_f32_i32_e32 v15, v15
	v_mul_f32_e32 v22, 0.5, v19
	v_trunc_f32_e32 v23, v22
	v_cmp_neq_f32_e32 vcc, v23, v22
	v_mul_f32_e32 v22, 0x3f317218, v15
	v_fma_f32 v23, v15, s23, -v22
	v_fmac_f32_e32 v23, 0xb102e308, v15
	v_add_f32_e32 v15, v22, v23
	v_sub_f32_e32 v22, v15, v22
	v_sub_f32_e32 v22, v23, v22
	v_add_f32_e32 v23, v27, v16
	v_sub_f32_e32 v24, v23, v27
	v_sub_f32_e32 v16, v16, v24
	;; [unrolled: 3-line block ×3, first 2 shown]
	v_add_f32_e32 v14, v14, v16
	v_add_f32_e32 v13, v14, v13
	v_add_f32_e32 v14, v24, v13
	v_sub_f32_e32 v16, v14, v24
	v_sub_f32_e32 v13, v13, v16
	v_add_f32_e32 v16, v15, v14
	v_sub_f32_e32 v23, v16, v15
	v_sub_f32_e32 v24, v16, v23
	;; [unrolled: 1-line block ×4, first 2 shown]
	v_add_f32_e32 v14, v14, v15
	v_add_f32_e32 v15, v22, v13
	v_sub_f32_e32 v23, v15, v22
	v_add_f32_e32 v14, v15, v14
	v_sub_f32_e32 v24, v15, v23
	;; [unrolled: 2-line block ×3, first 2 shown]
	v_sub_f32_e32 v13, v13, v23
	v_sub_f32_e32 v16, v15, v16
	v_add_f32_e32 v13, v13, v22
	v_sub_f32_e32 v14, v14, v16
	v_add_f32_e32 v13, v13, v14
	v_add_f32_e32 v14, v15, v13
	v_sub_f32_e32 v15, v14, v15
	v_sub_f32_e32 v13, v13, v15
	v_mul_f32_e32 v15, v19, v14
	v_fma_f32 v14, v19, v14, -v15
	v_fmac_f32_e32 v14, v19, v13
	v_add_f32_e32 v13, v15, v14
	v_cmp_class_f32_e64 s[0:1], v15, s24
	v_sub_f32_e32 v16, v13, v15
	v_cndmask_b32_e64 v15, v13, v15, s[0:1]
	v_mov_b32_e32 v13, 0x37000000
	v_cmp_eq_f32_e64 s[0:1], s26, v15
	v_cndmask_b32_e64 v22, 0, v13, s[0:1]
	v_sub_f32_e32 v23, v15, v22
	v_sub_f32_e32 v16, v14, v16
	v_mul_f32_e32 v14, 0x3fb8aa3b, v23
	v_fma_f32 v24, v23, s27, -v14
	v_rndne_f32_e32 v25, v14
	v_fmac_f32_e32 v24, 0x32a5705f, v23
	v_sub_f32_e32 v14, v14, v25
	v_add_f32_e32 v24, v14, v24
	global_load_dword v14, v[0:1], off
	v_exp_f32_e32 v0, v24
	v_cvt_i32_f32_e32 v1, v25
	s_mov_b32 s25, 0x7f800000
	v_cmp_neq_f32_e64 s[0:1], |v15|, s25
	v_cndmask_b32_e64 v15, 0, v16, s[0:1]
	v_ldexp_f32 v0, v0, v1
	v_cmp_ngt_f32_e64 s[0:1], s28, v23
	v_add_f32_e32 v16, v22, v15
	v_cndmask_b32_e64 v0, 0, v0, s[0:1]
	v_mov_b32_e32 v15, 0x7f800000
	v_cmp_nlt_f32_e64 s[0:1], s26, v23
	v_cndmask_b32_e64 v0, v15, v0, s[0:1]
	v_fma_f32 v1, v0, v16, v0
	v_cmp_class_f32_e64 s[0:1], v0, s24
	v_cndmask_b32_e64 v0, v1, v0, s[0:1]
	v_trunc_f32_e32 v1, v19
	v_cmp_eq_f32_e64 s[0:1], v1, v19
	s_and_b64 vcc, s[0:1], vcc
	v_cndmask_b32_e32 v1, 1.0, v20, vcc
	v_mov_b32_e32 v16, 0x7fc00000
	v_bfi_b32 v0, s10, v0, v1
	v_cndmask_b32_e64 v1, v16, v0, s[0:1]
	v_cmp_gt_f32_e64 s[0:1], 0, v20
	v_cndmask_b32_e64 v0, v0, v1, s[0:1]
	v_cmp_neq_f32_e64 s[0:1], v19, |v19|
	v_cmp_lt_f32_e64 s[4:5], |v20|, 1.0
	s_xor_b64 s[0:1], s[0:1], s[4:5]
	v_cndmask_b32_e64 v1, v15, 0, s[0:1]
	v_cmp_neq_f32_e64 s[0:1], |v20|, 1.0
	v_cndmask_b32_e64 v1, 1.0, v1, s[0:1]
	v_cmp_class_f32_e64 s[0:1], v19, s24
	v_cndmask_b32_e64 v0, v0, v1, s[0:1]
	v_cmp_gt_f32_e64 s[0:1], 0, v19
	v_cndmask_b32_e64 v1, v15, 0, s[0:1]
	v_cndmask_b32_e32 v22, 0, v20, vcc
	v_bfi_b32 v1, s10, v1, v22
	v_cmp_class_f32_e64 vcc, v20, s24
	v_cndmask_b32_e32 v22, v0, v1, vcc
	v_add_co_u32_e32 v0, vcc, -2, v18
	v_addc_co_u32_e32 v18, vcc, -1, v21, vcc
	v_mad_u64_u32 v[4:5], s[4:5], v0, s18, v[4:5]
	v_mul_lo_u32 v21, v0, s19
	v_mul_lo_u32 v18, v18, s18
	s_lshl_b64 s[0:1], s[20:21], 2
	v_mov_b32_e32 v1, s1
	v_add_co_u32_e32 v0, vcc, s0, v6
	v_add3_u32 v5, v18, v5, v21
	v_mul_lo_u32 v18, s21, v4
	v_mul_lo_u32 v21, s20, v5
	v_mad_u64_u32 v[4:5], s[0:1], s20, v4, 0
	v_addc_co_u32_e32 v1, vcc, v7, v1, vcc
	v_add3_u32 v5, v5, v21, v18
	v_lshlrev_b64 v[4:5], 2, v[4:5]
	v_cmp_neq_f32_e64 s[0:1], 0, v17
	v_mov_b32_e32 v18, s9
	v_add_co_u32_e32 v17, vcc, s8, v4
	v_addc_co_u32_e32 v18, vcc, v18, v5, vcc
	v_add_co_u32_e32 v4, vcc, v6, v2
	v_addc_co_u32_e32 v5, vcc, v7, v3, vcc
	v_cmp_o_f32_e32 vcc, v20, v19
	v_cndmask_b32_e32 v19, v16, v22, vcc
	s_lshl_b64 s[12:13], s[2:3], 2
	s_mov_b64 s[14:15], 0
	v_add_f32_e64 v20, s7, -2.0
	s_branch .LBB25_4
.LBB25_3:                               ;   in Loop: Header=BB25_4 Depth=1
	s_or_b64 exec, exec, s[16:17]
	v_add_co_u32_e32 v22, vcc, v17, v2
	v_addc_co_u32_e32 v23, vcc, v18, v3, vcc
	v_add_co_u32_e32 v24, vcc, v11, v2
	v_addc_co_u32_e32 v25, vcc, v12, v3, vcc
	global_store_dword v[24:25], v21, off
	v_mov_b32_e32 v24, s13
	v_add_co_u32_e32 v4, vcc, s12, v4
	v_addc_co_u32_e32 v5, vcc, v5, v24, vcc
	v_cmp_ge_u64_e32 vcc, v[4:5], v[0:1]
	v_xor_b32_e32 v21, 0x80000000, v21
	s_or_b64 s[14:15], vcc, s[14:15]
	v_add_co_u32_e32 v2, vcc, s12, v2
	v_addc_co_u32_e32 v3, vcc, v3, v24, vcc
	global_store_dword v[22:23], v21, off
	s_andn2_b64 exec, exec, s[14:15]
	s_cbranch_execz .LBB25_6
.LBB25_4:                               ; =>This Inner Loop Header: Depth=1
	v_mov_b32_e32 v21, 0
	s_and_saveexec_b64 s[16:17], s[0:1]
	s_cbranch_execz .LBB25_3
; %bb.5:                                ;   in Loop: Header=BB25_4 Depth=1
	v_add_co_u32_e32 v21, vcc, v8, v2
	v_addc_co_u32_e32 v22, vcc, v9, v3, vcc
	v_add_co_u32_e32 v23, vcc, v6, v2
	v_addc_co_u32_e32 v24, vcc, v7, v3, vcc
	global_load_dword v25, v[23:24], off
	global_load_dword v26, v[21:22], off
	s_waitcnt vmcnt(0)
	v_sub_f32_e32 v21, v25, v26
	v_cmp_neq_f32_e64 vcc, |v21|, 1.0
	v_cndmask_b32_e32 v22, 1.0, v20, vcc
	v_cmp_neq_f32_e32 vcc, 0, v22
	v_cndmask_b32_e64 v24, 1.0, |v21|, vcc
	v_frexp_mant_f32_e32 v23, v24
	v_cmp_gt_f32_e32 vcc, s22, v23
	v_cndmask_b32_e64 v25, 1.0, 2.0, vcc
	v_mul_f32_e32 v23, v23, v25
	v_add_f32_e32 v25, 1.0, v23
	v_rcp_f32_e32 v26, v25
	v_add_f32_e32 v27, -1.0, v23
	v_add_f32_e32 v28, -1.0, v25
	v_sub_f32_e32 v23, v23, v28
	v_mul_f32_e32 v28, v27, v26
	v_mul_f32_e32 v29, v25, v28
	v_fma_f32 v25, v28, v25, -v29
	v_fmac_f32_e32 v25, v28, v23
	v_add_f32_e32 v23, v29, v25
	v_sub_f32_e32 v29, v23, v29
	v_sub_f32_e32 v25, v29, v25
	;; [unrolled: 1-line block ×5, first 2 shown]
	v_add_f32_e32 v23, v25, v23
	v_add_f32_e32 v23, v29, v23
	v_mul_f32_e32 v23, v26, v23
	v_add_f32_e32 v26, v28, v23
	v_sub_f32_e32 v25, v26, v28
	v_mul_f32_e32 v27, v26, v26
	v_sub_f32_e32 v23, v23, v25
	v_fma_f32 v25, v26, v26, -v27
	v_add_f32_e32 v28, v23, v23
	v_fmac_f32_e32 v25, v26, v28
	v_add_f32_e32 v28, v27, v25
	v_sub_f32_e32 v27, v28, v27
	v_sub_f32_e32 v25, v25, v27
	v_mov_b32_e32 v27, 0x3e91f4c4
	v_fmac_f32_e32 v27, 0x3e76c4e1, v28
	v_fma_f32 v27, v28, v27, v10
	v_mul_f32_e32 v29, v26, v28
	v_fma_f32 v30, v28, v26, -v29
	v_mul_f32_e32 v31, v28, v27
	v_fmac_f32_e32 v30, v28, v23
	v_fma_f32 v28, v28, v27, -v31
	v_fmac_f32_e32 v28, v25, v27
	v_fmac_f32_e32 v30, v25, v26
	v_add_f32_e32 v25, v31, v28
	v_sub_f32_e32 v27, v25, v31
	v_sub_f32_e32 v27, v28, v27
	v_add_f32_e32 v28, 0x3f2aaaaa, v25
	v_add_f32_e32 v31, 0xbf2aaaaa, v28
	v_sub_f32_e32 v25, v25, v31
	v_add_f32_e32 v27, 0x31739010, v27
	v_add_f32_e32 v25, v27, v25
	;; [unrolled: 1-line block ×3, first 2 shown]
	v_sub_f32_e32 v28, v28, v27
	v_add_f32_e32 v25, v25, v28
	v_add_f32_e32 v28, v29, v30
	v_mul_f32_e32 v31, v28, v27
	v_fma_f32 v32, v28, v27, -v31
	v_fmac_f32_e32 v32, v28, v25
	v_sub_f32_e32 v25, v28, v29
	v_sub_f32_e32 v25, v30, v25
	v_fmac_f32_e32 v32, v25, v27
	v_cvt_f64_f32_e32 v[27:28], v24
	v_cmp_gt_f32_e64 s[6:7], 1.0, v24
	v_cmp_eq_f32_e64 s[4:5], s25, v24
	v_cmp_eq_f32_e64 s[8:9], 0, v24
	v_frexp_exp_i32_f64_e32 v25, v[27:28]
	v_cmp_neq_f32_e64 s[2:3], 1.0, v24
	v_add_f32_e32 v28, v31, v32
	v_ldexp_f32 v29, v26, 1
	v_add_f32_e32 v26, v29, v28
	v_sub_f32_e32 v29, v26, v29
	v_ldexp_f32 v23, v23, 1
	v_cmp_neq_f32_e64 s[20:21], v22, |v22|
	v_subbrev_co_u32_e32 v25, vcc, 0, v25, vcc
	v_cvt_f32_i32_e32 v25, v25
	v_cmp_o_f32_e32 vcc, v24, v22
	s_xor_b64 s[6:7], s[20:21], s[6:7]
	v_cmp_gt_f32_e64 s[10:11], 0, v22
	v_mul_f32_e32 v24, 0x3f317218, v25
	v_fma_f32 v27, v25, s23, -v24
	v_fmac_f32_e32 v27, 0xb102e308, v25
	v_add_f32_e32 v25, v24, v27
	v_sub_f32_e32 v24, v25, v24
	v_sub_f32_e32 v24, v27, v24
	;; [unrolled: 1-line block ×5, first 2 shown]
	v_add_f32_e32 v23, v23, v27
	v_add_f32_e32 v23, v23, v28
	;; [unrolled: 1-line block ×3, first 2 shown]
	v_sub_f32_e32 v26, v27, v26
	v_add_f32_e32 v28, v25, v27
	v_sub_f32_e32 v23, v23, v26
	v_sub_f32_e32 v26, v28, v25
	;; [unrolled: 1-line block ×5, first 2 shown]
	v_add_f32_e32 v26, v24, v23
	v_add_f32_e32 v25, v27, v25
	v_sub_f32_e32 v27, v26, v24
	v_sub_f32_e32 v23, v23, v27
	;; [unrolled: 1-line block ×4, first 2 shown]
	v_add_f32_e32 v25, v26, v25
	v_add_f32_e32 v23, v23, v24
	v_add_f32_e32 v24, v28, v25
	v_sub_f32_e32 v26, v24, v28
	v_sub_f32_e32 v25, v25, v26
	v_add_f32_e32 v23, v23, v25
	v_add_f32_e32 v25, v24, v23
	v_sub_f32_e32 v24, v25, v24
	v_mul_f32_e32 v26, v22, v25
	v_sub_f32_e32 v23, v23, v24
	v_fma_f32 v24, v22, v25, -v26
	v_fmac_f32_e32 v24, v22, v23
	v_cmp_class_f32_e64 s[18:19], v22, s24
	v_cndmask_b32_e64 v27, v15, 0, s[6:7]
	v_cmp_class_f32_e64 s[6:7], v26, s24
	v_add_f32_e32 v22, v26, v24
	v_sub_f32_e32 v23, v22, v26
	v_cndmask_b32_e64 v22, v22, v26, s[6:7]
	v_cmp_eq_f32_e64 s[6:7], s26, v22
	v_sub_f32_e32 v28, v24, v23
	v_cndmask_b32_e64 v23, 0, v13, s[6:7]
	s_xor_b64 s[10:11], s[10:11], s[8:9]
	s_or_b64 s[4:5], s[8:9], s[4:5]
	v_cmp_neq_f32_e64 s[8:9], |v22|, s25
	v_sub_f32_e32 v22, v22, v23
	v_mul_f32_e32 v25, 0x3fb8aa3b, v22
	v_fma_f32 v26, v22, s27, -v25
	v_rndne_f32_e32 v24, v25
	v_fmac_f32_e32 v26, 0x32a5705f, v22
	v_sub_f32_e32 v25, v25, v24
	v_add_f32_e32 v25, v25, v26
	v_cvt_i32_f32_e32 v24, v24
	v_exp_f32_e32 v25, v25
	v_cndmask_b32_e64 v27, 1.0, v27, s[2:3]
	v_cmp_ngt_f32_e64 s[2:3], s28, v22
	v_cmp_nlt_f32_e64 s[6:7], s26, v22
	v_ldexp_f32 v22, v25, v24
	v_cndmask_b32_e64 v28, 0, v28, s[8:9]
	v_cndmask_b32_e64 v22, 0, v22, s[2:3]
	v_add_f32_e32 v23, v23, v28
	v_cndmask_b32_e64 v22, v15, v22, s[6:7]
	v_fma_f32 v23, v22, v23, v22
	v_cmp_class_f32_e64 s[2:3], v22, s24
	v_cndmask_b32_e64 v22, v23, v22, s[2:3]
	v_cndmask_b32_e64 v26, v15, 0, s[10:11]
	v_cndmask_b32_e64 v22, |v22|, v27, s[18:19]
	v_cndmask_b32_e64 v22, v22, v26, s[4:5]
	v_cndmask_b32_e32 v22, v16, v22, vcc
	v_mul_f32_e32 v21, v21, v22
	v_mul_f32_e32 v21, v14, v21
	v_div_scale_f32 v22, s[2:3], v19, v19, v21
	v_div_scale_f32 v23, vcc, v21, v19, v21
	v_rcp_f32_e32 v24, v22
	v_fma_f32 v25, -v22, v24, 1.0
	v_fmac_f32_e32 v24, v25, v24
	v_mul_f32_e32 v25, v23, v24
	v_fma_f32 v26, -v22, v25, v23
	v_fmac_f32_e32 v25, v26, v24
	v_fma_f32 v22, -v22, v25, v23
	v_div_fmas_f32 v22, v22, v24, v25
	v_div_fixup_f32 v21, v22, v19, v21
	s_branch .LBB25_3
.LBB25_6:
	s_endpgm
	.section	.rodata,"a",@progbits
	.p2align	6, 0x0
	.amdhsa_kernel _ZN2at6native12_GLOBAL__N_131pdist_backward_kernel_cuda_implIfNS1_5distsIfE1pEEEvPT_PKS6_S9_S9_llllS6_dd
		.amdhsa_group_segment_fixed_size 0
		.amdhsa_private_segment_fixed_size 0
		.amdhsa_kernarg_size 344
		.amdhsa_user_sgpr_count 6
		.amdhsa_user_sgpr_private_segment_buffer 1
		.amdhsa_user_sgpr_dispatch_ptr 0
		.amdhsa_user_sgpr_queue_ptr 0
		.amdhsa_user_sgpr_kernarg_segment_ptr 1
		.amdhsa_user_sgpr_dispatch_id 0
		.amdhsa_user_sgpr_flat_scratch_init 0
		.amdhsa_user_sgpr_private_segment_size 0
		.amdhsa_uses_dynamic_stack 0
		.amdhsa_system_sgpr_private_segment_wavefront_offset 0
		.amdhsa_system_sgpr_workgroup_id_x 1
		.amdhsa_system_sgpr_workgroup_id_y 1
		.amdhsa_system_sgpr_workgroup_id_z 0
		.amdhsa_system_sgpr_workgroup_info 0
		.amdhsa_system_vgpr_workitem_id 1
		.amdhsa_next_free_vgpr 34
		.amdhsa_next_free_sgpr 29
		.amdhsa_reserve_vcc 1
		.amdhsa_reserve_flat_scratch 0
		.amdhsa_float_round_mode_32 0
		.amdhsa_float_round_mode_16_64 0
		.amdhsa_float_denorm_mode_32 3
		.amdhsa_float_denorm_mode_16_64 3
		.amdhsa_dx10_clamp 1
		.amdhsa_ieee_mode 1
		.amdhsa_fp16_overflow 0
		.amdhsa_exception_fp_ieee_invalid_op 0
		.amdhsa_exception_fp_denorm_src 0
		.amdhsa_exception_fp_ieee_div_zero 0
		.amdhsa_exception_fp_ieee_overflow 0
		.amdhsa_exception_fp_ieee_underflow 0
		.amdhsa_exception_fp_ieee_inexact 0
		.amdhsa_exception_int_div_zero 0
	.end_amdhsa_kernel
	.section	.text._ZN2at6native12_GLOBAL__N_131pdist_backward_kernel_cuda_implIfNS1_5distsIfE1pEEEvPT_PKS6_S9_S9_llllS6_dd,"axG",@progbits,_ZN2at6native12_GLOBAL__N_131pdist_backward_kernel_cuda_implIfNS1_5distsIfE1pEEEvPT_PKS6_S9_S9_llllS6_dd,comdat
.Lfunc_end25:
	.size	_ZN2at6native12_GLOBAL__N_131pdist_backward_kernel_cuda_implIfNS1_5distsIfE1pEEEvPT_PKS6_S9_S9_llllS6_dd, .Lfunc_end25-_ZN2at6native12_GLOBAL__N_131pdist_backward_kernel_cuda_implIfNS1_5distsIfE1pEEEvPT_PKS6_S9_S9_llllS6_dd
                                        ; -- End function
	.set _ZN2at6native12_GLOBAL__N_131pdist_backward_kernel_cuda_implIfNS1_5distsIfE1pEEEvPT_PKS6_S9_S9_llllS6_dd.num_vgpr, 34
	.set _ZN2at6native12_GLOBAL__N_131pdist_backward_kernel_cuda_implIfNS1_5distsIfE1pEEEvPT_PKS6_S9_S9_llllS6_dd.num_agpr, 0
	.set _ZN2at6native12_GLOBAL__N_131pdist_backward_kernel_cuda_implIfNS1_5distsIfE1pEEEvPT_PKS6_S9_S9_llllS6_dd.numbered_sgpr, 29
	.set _ZN2at6native12_GLOBAL__N_131pdist_backward_kernel_cuda_implIfNS1_5distsIfE1pEEEvPT_PKS6_S9_S9_llllS6_dd.num_named_barrier, 0
	.set _ZN2at6native12_GLOBAL__N_131pdist_backward_kernel_cuda_implIfNS1_5distsIfE1pEEEvPT_PKS6_S9_S9_llllS6_dd.private_seg_size, 0
	.set _ZN2at6native12_GLOBAL__N_131pdist_backward_kernel_cuda_implIfNS1_5distsIfE1pEEEvPT_PKS6_S9_S9_llllS6_dd.uses_vcc, 1
	.set _ZN2at6native12_GLOBAL__N_131pdist_backward_kernel_cuda_implIfNS1_5distsIfE1pEEEvPT_PKS6_S9_S9_llllS6_dd.uses_flat_scratch, 0
	.set _ZN2at6native12_GLOBAL__N_131pdist_backward_kernel_cuda_implIfNS1_5distsIfE1pEEEvPT_PKS6_S9_S9_llllS6_dd.has_dyn_sized_stack, 0
	.set _ZN2at6native12_GLOBAL__N_131pdist_backward_kernel_cuda_implIfNS1_5distsIfE1pEEEvPT_PKS6_S9_S9_llllS6_dd.has_recursion, 0
	.set _ZN2at6native12_GLOBAL__N_131pdist_backward_kernel_cuda_implIfNS1_5distsIfE1pEEEvPT_PKS6_S9_S9_llllS6_dd.has_indirect_call, 0
	.section	.AMDGPU.csdata,"",@progbits
; Kernel info:
; codeLenInByte = 3032
; TotalNumSgprs: 33
; NumVgprs: 34
; ScratchSize: 0
; MemoryBound: 0
; FloatMode: 240
; IeeeMode: 1
; LDSByteSize: 0 bytes/workgroup (compile time only)
; SGPRBlocks: 4
; VGPRBlocks: 8
; NumSGPRsForWavesPerEU: 33
; NumVGPRsForWavesPerEU: 34
; Occupancy: 7
; WaveLimiterHint : 0
; COMPUTE_PGM_RSRC2:SCRATCH_EN: 0
; COMPUTE_PGM_RSRC2:USER_SGPR: 6
; COMPUTE_PGM_RSRC2:TRAP_HANDLER: 0
; COMPUTE_PGM_RSRC2:TGID_X_EN: 1
; COMPUTE_PGM_RSRC2:TGID_Y_EN: 1
; COMPUTE_PGM_RSRC2:TGID_Z_EN: 0
; COMPUTE_PGM_RSRC2:TIDIG_COMP_CNT: 1
	.section	.text._ZN2at6native12_GLOBAL__N_131pdist_backward_kernel_cuda_implIfNS1_5distsIfE3oneEEEvPT_PKS6_S9_S9_llllS6_dd,"axG",@progbits,_ZN2at6native12_GLOBAL__N_131pdist_backward_kernel_cuda_implIfNS1_5distsIfE3oneEEEvPT_PKS6_S9_S9_llllS6_dd,comdat
	.globl	_ZN2at6native12_GLOBAL__N_131pdist_backward_kernel_cuda_implIfNS1_5distsIfE3oneEEEvPT_PKS6_S9_S9_llllS6_dd ; -- Begin function _ZN2at6native12_GLOBAL__N_131pdist_backward_kernel_cuda_implIfNS1_5distsIfE3oneEEEvPT_PKS6_S9_S9_llllS6_dd
	.p2align	8
	.type	_ZN2at6native12_GLOBAL__N_131pdist_backward_kernel_cuda_implIfNS1_5distsIfE3oneEEEvPT_PKS6_S9_S9_llllS6_dd,@function
_ZN2at6native12_GLOBAL__N_131pdist_backward_kernel_cuda_implIfNS1_5distsIfE3oneEEEvPT_PKS6_S9_S9_llllS6_dd: ; @_ZN2at6native12_GLOBAL__N_131pdist_backward_kernel_cuda_implIfNS1_5distsIfE3oneEEEvPT_PKS6_S9_S9_llllS6_dd
; %bb.0:
	s_load_dword s0, s[4:5], 0x64
	s_load_dwordx8 s[8:15], s[4:5], 0x20
	s_add_u32 s16, s4, 0x58
	v_mov_b32_e32 v2, v0
	s_addc_u32 s17, s5, 0
	v_mov_b32_e32 v3, 0
	s_waitcnt lgkmcnt(0)
	s_and_b32 s1, s0, 0xffff
	v_mov_b32_e32 v0, s6
	v_mad_u64_u32 v[2:3], s[2:3], s1, v0, v[2:3]
	v_cmp_gt_i64_e32 vcc, s[14:15], v[2:3]
	s_and_saveexec_b64 s[2:3], vcc
	s_cbranch_execz .LBB26_4
; %bb.1:
	s_lshr_b32 s14, s0, 16
	s_mul_i32 s7, s7, s14
	v_add_u32_e32 v0, s7, v1
	v_ashrrev_i32_e32 v1, 31, v0
	v_cmp_gt_i64_e32 vcc, s[12:13], v[0:1]
	s_and_b64 exec, exec, vcc
	s_cbranch_execz .LBB26_4
; %bb.2:
	v_lshlrev_b64 v[4:5], 1, v[2:3]
	s_load_dwordx4 s[0:3], s[4:5], 0x48
	v_cvt_f64_u32_e32 v[5:6], v5
	v_cvt_f64_u32_e32 v[7:8], v4
	v_mov_b32_e32 v14, s11
	v_lshlrev_b64 v[0:1], 2, v[0:1]
	v_ldexp_f64 v[5:6], v[5:6], 32
	v_add_f64 v[4:5], v[5:6], v[7:8]
	v_mov_b32_e32 v6, 0x100
	s_waitcnt lgkmcnt(0)
	v_add_f64 v[4:5], s[2:3], -v[4:5]
	s_mov_b32 s2, 0
	s_brev_b32 s3, 8
	v_cmp_gt_f64_e32 vcc, s[2:3], v[4:5]
	v_cndmask_b32_e32 v6, 0, v6, vcc
	v_ldexp_f64 v[4:5], v[4:5], v6
	v_rsq_f64_e32 v[6:7], v[4:5]
	v_mul_f64 v[8:9], v[4:5], v[6:7]
	v_mul_f64 v[6:7], v[6:7], 0.5
	v_fma_f64 v[10:11], -v[6:7], v[8:9], 0.5
	v_fma_f64 v[8:9], v[8:9], v[10:11], v[8:9]
	v_fma_f64 v[6:7], v[6:7], v[10:11], v[6:7]
	v_fma_f64 v[10:11], -v[8:9], v[8:9], v[4:5]
	v_fma_f64 v[8:9], v[10:11], v[6:7], v[8:9]
	v_fma_f64 v[10:11], -v[8:9], v[8:9], v[4:5]
	v_fma_f64 v[6:7], v[10:11], v[6:7], v[8:9]
	v_mov_b32_e32 v8, 0xffffff80
	v_mov_b32_e32 v9, 0x260
	v_cndmask_b32_e32 v8, 0, v8, vcc
	v_cmp_class_f64_e32 vcc, v[4:5], v9
	v_mul_lo_u32 v10, v3, s8
	v_mul_lo_u32 v11, v2, s9
	v_ldexp_f64 v[6:7], v[6:7], v8
	v_cndmask_b32_e32 v5, v7, v5, vcc
	v_cndmask_b32_e32 v4, v6, v4, vcc
	v_add_f64 v[4:5], s[0:1], -v[4:5]
	s_movk_i32 s0, 0xffe0
	v_trunc_f64_e32 v[4:5], v[4:5]
	v_ldexp_f64 v[6:7], v[4:5], s0
	s_load_dwordx4 s[0:3], s[4:5], 0x0
	s_load_dwordx2 s[6:7], s[4:5], 0x10
	s_load_dword s15, s[16:17], 0x4
	s_mov_b32 s16, 0
	s_mov_b32 s17, 0xc1f00000
	v_mad_u64_u32 v[8:9], s[4:5], v2, s8, 0
	s_waitcnt lgkmcnt(0)
	v_mov_b32_e32 v12, s3
	v_mov_b32_e32 v16, s7
	v_floor_f64_e32 v[6:7], v[6:7]
	v_add3_u32 v9, v9, v11, v10
	v_lshlrev_b64 v[8:9], 2, v[8:9]
	s_lshl_b64 s[4:5], s[12:13], 2
	v_mov_b32_e32 v15, s5
	v_mov_b32_e32 v21, s7
	;; [unrolled: 1-line block ×3, first 2 shown]
	s_mul_i32 s8, s15, s14
	v_fma_f64 v[4:5], v[6:7], s[16:17], v[4:5]
	v_cvt_i32_f64_e32 v11, v[6:7]
	s_ashr_i32 s9, s8, 31
	v_mul_lo_u32 v6, s12, v11
	v_cvt_u32_f64_e32 v10, v[4:5]
	v_add_co_u32_e32 v4, vcc, s2, v8
	v_addc_co_u32_e32 v5, vcc, v12, v9, vcc
	v_mul_lo_u32 v18, s13, v10
	v_mad_u64_u32 v[7:8], s[2:3], s12, v10, 0
	v_mul_lo_u32 v9, s10, v11
	v_mul_lo_u32 v19, s11, v10
	v_mad_u64_u32 v[12:13], s[2:3], s10, v10, 0
	v_add3_u32 v8, v8, v6, v18
	v_add_co_u32_e32 v18, vcc, 1, v10
	v_addc_co_u32_e32 v20, vcc, 0, v11, vcc
	v_add3_u32 v6, v13, v9, v19
	v_sub_co_u32_e32 v12, vcc, v2, v12
	v_subb_co_u32_e32 v13, vcc, v3, v6, vcc
	global_load_dword v6, v[4:5], off
	v_mul_lo_u32 v9, v20, v10
	v_mad_u64_u32 v[2:3], s[2:3], v18, v10, 0
	v_mul_lo_u32 v19, v18, v11
	v_lshlrev_b64 v[4:5], 2, v[7:8]
	v_add_co_u32_e32 v7, vcc, s6, v4
	v_add3_u32 v3, v3, v19, v9
	v_addc_co_u32_e32 v8, vcc, v16, v5, vcc
	v_lshrrev_b32_e32 v4, 31, v3
	v_add_co_u32_e32 v2, vcc, v2, v4
	v_addc_co_u32_e32 v3, vcc, 0, v3, vcc
	v_ashrrev_i64 v[2:3], 1, v[2:3]
	v_add_co_u32_e32 v16, vcc, v2, v12
	v_addc_co_u32_e32 v19, vcc, v3, v13, vcc
	v_add_co_u32_e32 v4, vcc, v18, v16
	v_addc_co_u32_e32 v5, vcc, v20, v19, vcc
	v_mul_lo_u32 v2, v5, s12
	v_mul_lo_u32 v3, v4, s13
	v_mad_u64_u32 v[12:13], s[2:3], v4, s12, 0
	v_mov_b32_e32 v18, s1
	s_lshl_b64 s[2:3], s[8:9], 2
	v_add3_u32 v13, v13, v3, v2
	v_add_co_u32_e32 v2, vcc, s4, v7
	v_addc_co_u32_e32 v3, vcc, v8, v15, vcc
	v_sub_co_u32_e32 v9, vcc, s10, v10
	v_subb_co_u32_e32 v14, vcc, v14, v11, vcc
	v_add_co_u32_e32 v15, vcc, -2, v9
	v_addc_co_u32_e32 v14, vcc, -1, v14, vcc
	v_mad_u64_u32 v[9:10], s[4:5], v16, s10, v[10:11]
	v_mul_lo_u32 v11, v16, s11
	v_mul_lo_u32 v16, v19, s10
	v_mad_u64_u32 v[4:5], s[4:5], v15, s10, v[4:5]
	v_mul_lo_u32 v19, v15, s11
	v_mul_lo_u32 v20, v14, s10
	v_add3_u32 v10, v16, v10, v11
	v_mul_lo_u32 v16, v9, s13
	v_mad_u64_u32 v[14:15], s[4:5], v9, s12, 0
	v_add3_u32 v5, v20, v5, v19
	v_mul_lo_u32 v19, v10, s12
	v_lshlrev_b64 v[9:10], 2, v[12:13]
	v_mul_lo_u32 v20, s13, v4
	v_add_co_u32_e32 v9, vcc, s6, v9
	v_addc_co_u32_e32 v10, vcc, v21, v10, vcc
	v_mad_u64_u32 v[11:12], s[4:5], s12, v4, 0
	v_mul_lo_u32 v21, s12, v5
	v_add3_u32 v15, v15, v16, v19
	v_add_co_u32_e32 v4, vcc, v7, v0
	v_lshlrev_b64 v[13:14], 2, v[14:15]
	v_addc_co_u32_e32 v5, vcc, v8, v1, vcc
	v_add3_u32 v12, v12, v21, v20
	v_lshlrev_b64 v[15:16], 2, v[11:12]
	v_add_co_u32_e32 v11, vcc, s0, v13
	v_addc_co_u32_e32 v12, vcc, v17, v14, vcc
	v_add_co_u32_e32 v13, vcc, s0, v15
	v_addc_co_u32_e32 v14, vcc, v18, v16, vcc
	s_mov_b64 s[4:5], 0
.LBB26_3:                               ; =>This Inner Loop Header: Depth=1
	v_add_co_u32_e32 v15, vcc, v9, v0
	v_addc_co_u32_e32 v16, vcc, v10, v1, vcc
	v_add_co_u32_e32 v17, vcc, v7, v0
	v_addc_co_u32_e32 v18, vcc, v8, v1, vcc
	global_load_dword v19, v[17:18], off
	global_load_dword v20, v[15:16], off
	v_add_co_u32_e32 v15, vcc, v13, v0
	v_addc_co_u32_e32 v16, vcc, v14, v1, vcc
	v_add_co_u32_e32 v17, vcc, v11, v0
	v_addc_co_u32_e32 v18, vcc, v12, v1, vcc
	v_mov_b32_e32 v21, s3
	v_add_co_u32_e32 v0, vcc, s2, v0
	v_addc_co_u32_e32 v1, vcc, v1, v21, vcc
	v_add_co_u32_e64 v4, s[0:1], s2, v4
	v_addc_co_u32_e64 v5, s[0:1], v5, v21, s[0:1]
	s_waitcnt vmcnt(0)
	v_sub_f32_e32 v19, v19, v20
	v_cmp_lt_f32_e32 vcc, 0, v19
	v_cndmask_b32_e64 v20, 0, 1, vcc
	v_cmp_gt_f32_e32 vcc, 0, v19
	v_subbrev_co_u32_e32 v19, vcc, 0, v20, vcc
	v_cvt_f32_i32_e32 v19, v19
	v_cmp_ge_u64_e32 vcc, v[4:5], v[2:3]
	s_or_b64 s[4:5], vcc, s[4:5]
	v_mul_f32_e32 v19, v6, v19
	global_store_dword v[17:18], v19, off
	v_xor_b32_e32 v17, 0x80000000, v19
	global_store_dword v[15:16], v17, off
	s_andn2_b64 exec, exec, s[4:5]
	s_cbranch_execnz .LBB26_3
.LBB26_4:
	s_endpgm
	.section	.rodata,"a",@progbits
	.p2align	6, 0x0
	.amdhsa_kernel _ZN2at6native12_GLOBAL__N_131pdist_backward_kernel_cuda_implIfNS1_5distsIfE3oneEEEvPT_PKS6_S9_S9_llllS6_dd
		.amdhsa_group_segment_fixed_size 0
		.amdhsa_private_segment_fixed_size 0
		.amdhsa_kernarg_size 344
		.amdhsa_user_sgpr_count 6
		.amdhsa_user_sgpr_private_segment_buffer 1
		.amdhsa_user_sgpr_dispatch_ptr 0
		.amdhsa_user_sgpr_queue_ptr 0
		.amdhsa_user_sgpr_kernarg_segment_ptr 1
		.amdhsa_user_sgpr_dispatch_id 0
		.amdhsa_user_sgpr_flat_scratch_init 0
		.amdhsa_user_sgpr_private_segment_size 0
		.amdhsa_uses_dynamic_stack 0
		.amdhsa_system_sgpr_private_segment_wavefront_offset 0
		.amdhsa_system_sgpr_workgroup_id_x 1
		.amdhsa_system_sgpr_workgroup_id_y 1
		.amdhsa_system_sgpr_workgroup_id_z 0
		.amdhsa_system_sgpr_workgroup_info 0
		.amdhsa_system_vgpr_workitem_id 1
		.amdhsa_next_free_vgpr 22
		.amdhsa_next_free_sgpr 18
		.amdhsa_reserve_vcc 1
		.amdhsa_reserve_flat_scratch 0
		.amdhsa_float_round_mode_32 0
		.amdhsa_float_round_mode_16_64 0
		.amdhsa_float_denorm_mode_32 3
		.amdhsa_float_denorm_mode_16_64 3
		.amdhsa_dx10_clamp 1
		.amdhsa_ieee_mode 1
		.amdhsa_fp16_overflow 0
		.amdhsa_exception_fp_ieee_invalid_op 0
		.amdhsa_exception_fp_denorm_src 0
		.amdhsa_exception_fp_ieee_div_zero 0
		.amdhsa_exception_fp_ieee_overflow 0
		.amdhsa_exception_fp_ieee_underflow 0
		.amdhsa_exception_fp_ieee_inexact 0
		.amdhsa_exception_int_div_zero 0
	.end_amdhsa_kernel
	.section	.text._ZN2at6native12_GLOBAL__N_131pdist_backward_kernel_cuda_implIfNS1_5distsIfE3oneEEEvPT_PKS6_S9_S9_llllS6_dd,"axG",@progbits,_ZN2at6native12_GLOBAL__N_131pdist_backward_kernel_cuda_implIfNS1_5distsIfE3oneEEEvPT_PKS6_S9_S9_llllS6_dd,comdat
.Lfunc_end26:
	.size	_ZN2at6native12_GLOBAL__N_131pdist_backward_kernel_cuda_implIfNS1_5distsIfE3oneEEEvPT_PKS6_S9_S9_llllS6_dd, .Lfunc_end26-_ZN2at6native12_GLOBAL__N_131pdist_backward_kernel_cuda_implIfNS1_5distsIfE3oneEEEvPT_PKS6_S9_S9_llllS6_dd
                                        ; -- End function
	.set _ZN2at6native12_GLOBAL__N_131pdist_backward_kernel_cuda_implIfNS1_5distsIfE3oneEEEvPT_PKS6_S9_S9_llllS6_dd.num_vgpr, 22
	.set _ZN2at6native12_GLOBAL__N_131pdist_backward_kernel_cuda_implIfNS1_5distsIfE3oneEEEvPT_PKS6_S9_S9_llllS6_dd.num_agpr, 0
	.set _ZN2at6native12_GLOBAL__N_131pdist_backward_kernel_cuda_implIfNS1_5distsIfE3oneEEEvPT_PKS6_S9_S9_llllS6_dd.numbered_sgpr, 18
	.set _ZN2at6native12_GLOBAL__N_131pdist_backward_kernel_cuda_implIfNS1_5distsIfE3oneEEEvPT_PKS6_S9_S9_llllS6_dd.num_named_barrier, 0
	.set _ZN2at6native12_GLOBAL__N_131pdist_backward_kernel_cuda_implIfNS1_5distsIfE3oneEEEvPT_PKS6_S9_S9_llllS6_dd.private_seg_size, 0
	.set _ZN2at6native12_GLOBAL__N_131pdist_backward_kernel_cuda_implIfNS1_5distsIfE3oneEEEvPT_PKS6_S9_S9_llllS6_dd.uses_vcc, 1
	.set _ZN2at6native12_GLOBAL__N_131pdist_backward_kernel_cuda_implIfNS1_5distsIfE3oneEEEvPT_PKS6_S9_S9_llllS6_dd.uses_flat_scratch, 0
	.set _ZN2at6native12_GLOBAL__N_131pdist_backward_kernel_cuda_implIfNS1_5distsIfE3oneEEEvPT_PKS6_S9_S9_llllS6_dd.has_dyn_sized_stack, 0
	.set _ZN2at6native12_GLOBAL__N_131pdist_backward_kernel_cuda_implIfNS1_5distsIfE3oneEEEvPT_PKS6_S9_S9_llllS6_dd.has_recursion, 0
	.set _ZN2at6native12_GLOBAL__N_131pdist_backward_kernel_cuda_implIfNS1_5distsIfE3oneEEEvPT_PKS6_S9_S9_llllS6_dd.has_indirect_call, 0
	.section	.AMDGPU.csdata,"",@progbits
; Kernel info:
; codeLenInByte = 1056
; TotalNumSgprs: 22
; NumVgprs: 22
; ScratchSize: 0
; MemoryBound: 0
; FloatMode: 240
; IeeeMode: 1
; LDSByteSize: 0 bytes/workgroup (compile time only)
; SGPRBlocks: 2
; VGPRBlocks: 5
; NumSGPRsForWavesPerEU: 22
; NumVGPRsForWavesPerEU: 22
; Occupancy: 10
; WaveLimiterHint : 1
; COMPUTE_PGM_RSRC2:SCRATCH_EN: 0
; COMPUTE_PGM_RSRC2:USER_SGPR: 6
; COMPUTE_PGM_RSRC2:TRAP_HANDLER: 0
; COMPUTE_PGM_RSRC2:TGID_X_EN: 1
; COMPUTE_PGM_RSRC2:TGID_Y_EN: 1
; COMPUTE_PGM_RSRC2:TGID_Z_EN: 0
; COMPUTE_PGM_RSRC2:TIDIG_COMP_CNT: 1
	.section	.text._ZN2at6native12_GLOBAL__N_131pdist_backward_kernel_cuda_implIfNS1_5distsIfE6lt_twoEEEvPT_PKS6_S9_S9_llllS6_dd,"axG",@progbits,_ZN2at6native12_GLOBAL__N_131pdist_backward_kernel_cuda_implIfNS1_5distsIfE6lt_twoEEEvPT_PKS6_S9_S9_llllS6_dd,comdat
	.globl	_ZN2at6native12_GLOBAL__N_131pdist_backward_kernel_cuda_implIfNS1_5distsIfE6lt_twoEEEvPT_PKS6_S9_S9_llllS6_dd ; -- Begin function _ZN2at6native12_GLOBAL__N_131pdist_backward_kernel_cuda_implIfNS1_5distsIfE6lt_twoEEEvPT_PKS6_S9_S9_llllS6_dd
	.p2align	8
	.type	_ZN2at6native12_GLOBAL__N_131pdist_backward_kernel_cuda_implIfNS1_5distsIfE6lt_twoEEEvPT_PKS6_S9_S9_llllS6_dd,@function
_ZN2at6native12_GLOBAL__N_131pdist_backward_kernel_cuda_implIfNS1_5distsIfE6lt_twoEEEvPT_PKS6_S9_S9_llllS6_dd: ; @_ZN2at6native12_GLOBAL__N_131pdist_backward_kernel_cuda_implIfNS1_5distsIfE6lt_twoEEEvPT_PKS6_S9_S9_llllS6_dd
; %bb.0:
	s_load_dword s0, s[4:5], 0x64
	s_load_dwordx16 s[8:23], s[4:5], 0x0
	s_add_u32 s2, s4, 0x58
	v_mov_b32_e32 v2, v0
	s_addc_u32 s3, s5, 0
	v_mov_b32_e32 v3, 0
	s_waitcnt lgkmcnt(0)
	s_and_b32 s1, s0, 0xffff
	v_mov_b32_e32 v0, s6
	v_mad_u64_u32 v[2:3], s[24:25], s1, v0, v[2:3]
	v_cmp_gt_i64_e32 vcc, s[22:23], v[2:3]
	s_and_saveexec_b64 s[22:23], vcc
	s_cbranch_execz .LBB27_6
; %bb.1:
	s_lshr_b32 s6, s0, 16
	s_mul_i32 s7, s7, s6
	v_add_u32_e32 v0, s7, v1
	v_ashrrev_i32_e32 v1, 31, v0
	v_cmp_gt_i64_e32 vcc, s[20:21], v[0:1]
	s_and_b64 exec, exec, vcc
	s_cbranch_execz .LBB27_6
; %bb.2:
	v_lshlrev_b64 v[4:5], 1, v[2:3]
	s_load_dwordx4 s[24:27], s[4:5], 0x48
	s_load_dword s7, s[4:5], 0x40
	v_cvt_f64_u32_e32 v[5:6], v5
	v_cvt_f64_u32_e32 v[7:8], v4
	s_mov_b32 s0, 0
	s_brev_b32 s1, 8
	v_ldexp_f64 v[5:6], v[5:6], 32
	v_mul_lo_u32 v16, v2, s17
	v_mov_b32_e32 v15, 0xffffff80
	v_mov_b32_e32 v27, s11
	;; [unrolled: 1-line block ×3, first 2 shown]
	s_mov_b32 s4, 0
	s_mov_b32 s5, 0xc1f00000
	v_mov_b32_e32 v28, 0x3e91f4c4
	v_add_f64 v[4:5], v[5:6], v[7:8]
	v_lshlrev_b64 v[6:7], 2, v[2:3]
	v_mov_b32_e32 v8, s15
	v_add_co_u32_e32 v6, vcc, s14, v6
	v_addc_co_u32_e32 v7, vcc, v8, v7, vcc
	global_load_dword v14, v[6:7], off
	s_waitcnt lgkmcnt(0)
	v_add_f64 v[4:5], s[26:27], -v[4:5]
	v_mov_b32_e32 v6, 0x100
	s_mov_b32 s14, 0x3f2aaaab
	s_movk_i32 s15, 0xffe0
	v_mov_b32_e32 v12, s13
	v_mov_b32_e32 v20, s13
	;; [unrolled: 1-line block ×3, first 2 shown]
	s_mov_b32 s22, 0x42b17218
	v_cmp_gt_f64_e32 vcc, s[0:1], v[4:5]
	v_mad_u64_u32 v[21:22], s[0:1], v2, s16, 0
	s_mov_b32 s23, 0x3fb8aa3b
	s_mov_b32 s17, 0x7f800000
	v_lshlrev_b64 v[0:1], 2, v[0:1]
	v_cndmask_b32_e32 v6, 0, v6, vcc
	v_ldexp_f64 v[6:7], v[4:5], v6
	v_rsq_f64_e32 v[4:5], v[6:7]
	v_mul_f64 v[8:9], v[6:7], v[4:5]
	v_mul_f64 v[4:5], v[4:5], 0.5
	v_fma_f64 v[10:11], -v[4:5], v[8:9], 0.5
	v_fma_f64 v[18:19], v[8:9], v[10:11], v[8:9]
	v_fma_f64 v[8:9], v[4:5], v[10:11], v[4:5]
	v_mul_lo_u32 v11, v3, s16
	v_mov_b32_e32 v10, 0x3ecccdef
	s_movk_i32 s16, 0x204
	v_add3_u32 v22, v22, v16, v11
	v_add_f32_e64 v11, s7, -1.0
	v_fma_f64 v[4:5], -v[18:19], v[18:19], v[6:7]
	v_fma_f64 v[23:24], v[4:5], v[8:9], v[18:19]
	v_lshlrev_b64 v[4:5], 2, v[21:22]
	v_cndmask_b32_e32 v18, 0, v15, vcc
	v_add_co_u32_e64 v4, s[0:1], s10, v4
	v_addc_co_u32_e64 v5, s[0:1], v27, v5, s[0:1]
	v_cmp_class_f64_e64 s[0:1], v[6:7], v17
	v_fma_f64 v[25:26], -v[23:24], v[23:24], v[6:7]
	s_waitcnt vmcnt(0)
	v_cmp_neq_f32_e32 vcc, 1.0, v14
	v_cndmask_b32_e32 v15, 1.0, v11, vcc
	v_cmp_neq_f32_e32 vcc, 0, v15
	v_cndmask_b32_e32 v16, 1.0, v14, vcc
	v_frexp_mant_f32_e64 v21, |v16|
	v_cmp_gt_f32_e32 vcc, s14, v21
	v_cndmask_b32_e64 v22, 1.0, 2.0, vcc
	v_fma_f64 v[8:9], v[25:26], v[8:9], v[23:24]
	v_mul_f32_e32 v17, v21, v22
	v_add_f32_e32 v21, -1.0, v17
	v_mov_b32_e32 v19, s19
	s_brev_b32 s10, -2
	v_ldexp_f64 v[8:9], v[8:9], v18
	v_add_f32_e32 v18, 1.0, v17
	v_rcp_f32_e32 v23, v18
	v_add_f32_e32 v22, -1.0, v18
	v_sub_f32_e32 v17, v17, v22
	v_mul_f32_e32 v22, v21, v23
	v_cndmask_b32_e64 v7, v9, v7, s[0:1]
	v_cndmask_b32_e64 v6, v8, v6, s[0:1]
	v_add_f64 v[6:7], s[24:25], -v[6:7]
	v_mul_f32_e32 v8, v18, v22
	v_fma_f32 v9, v22, v18, -v8
	v_fmac_f32_e32 v9, v22, v17
	v_add_f32_e32 v17, v8, v9
	v_sub_f32_e32 v8, v17, v8
	v_sub_f32_e32 v18, v21, v17
	;; [unrolled: 1-line block ×3, first 2 shown]
	v_trunc_f64_e32 v[6:7], v[6:7]
	v_sub_f32_e32 v9, v21, v18
	v_sub_f32_e32 v9, v9, v17
	v_add_f32_e32 v8, v8, v9
	v_add_f32_e32 v8, v18, v8
	v_mul_f32_e32 v18, v23, v8
	v_add_f32_e32 v17, v22, v18
	v_sub_f32_e32 v21, v17, v22
	v_ldexp_f64 v[8:9], v[6:7], s15
	v_mul_f32_e32 v22, v17, v17
	v_sub_f32_e32 v18, v18, v21
	v_fma_f32 v21, v17, v17, -v22
	v_add_f32_e32 v23, v18, v18
	v_fmac_f32_e32 v21, v17, v23
	v_add_f32_e32 v25, v22, v21
	v_sub_f32_e32 v22, v25, v22
	v_floor_f64_e32 v[8:9], v[8:9]
	v_fmac_f32_e32 v28, 0x3e76c4e1, v25
	v_mul_f32_e32 v23, v17, v25
	v_sub_f32_e32 v21, v21, v22
	v_fma_f32 v22, v25, v28, v10
	v_fma_f32 v24, v25, v17, -v23
	v_mul_f32_e32 v26, v25, v22
	v_fmac_f32_e32 v24, v25, v18
	v_fma_f64 v[6:7], v[8:9], s[4:5], v[6:7]
	v_fma_f32 v25, v25, v22, -v26
	v_cvt_i32_f64_e32 v9, v[8:9]
	v_fmac_f32_e32 v25, v21, v22
	v_add_f32_e32 v29, v26, v25
	v_fmac_f32_e32 v24, v21, v17
	v_sub_f32_e32 v21, v29, v26
	v_sub_f32_e32 v30, v25, v21
	v_cvt_u32_f64_e32 v8, v[6:7]
	v_mul_lo_u32 v25, s20, v9
	v_mul_lo_u32 v26, s18, v9
	s_mov_b32 s15, 0x3f317218
	v_mul_lo_u32 v27, s21, v8
	v_mad_u64_u32 v[6:7], s[0:1], s20, v8, 0
	v_mul_lo_u32 v28, s19, v8
	v_mad_u64_u32 v[21:22], s[0:1], s18, v8, 0
	v_add3_u32 v7, v7, v25, v27
	v_add_co_u32_e64 v27, s[0:1], 1, v8
	v_addc_co_u32_e64 v31, s[0:1], 0, v9, s[0:1]
	v_mul_lo_u32 v32, v31, v8
	v_add3_u32 v22, v22, v26, v28
	v_sub_co_u32_e64 v28, s[0:1], v2, v21
	v_mad_u64_u32 v[25:26], s[4:5], v27, v8, 0
	v_mul_lo_u32 v34, v27, v9
	v_subb_co_u32_e64 v33, s[0:1], v3, v22, s[0:1]
	v_sub_co_u32_e64 v21, s[0:1], s18, v8
	v_lshlrev_b64 v[2:3], 2, v[6:7]
	v_subb_co_u32_e64 v22, s[0:1], v19, v9, s[0:1]
	v_add3_u32 v19, v26, v34, v32
	v_add_co_u32_e64 v6, s[0:1], s12, v2
	v_addc_co_u32_e64 v7, s[0:1], v12, v3, s[0:1]
	v_lshrrev_b32_e32 v2, 31, v19
	v_add_co_u32_e64 v2, s[0:1], v25, v2
	v_addc_co_u32_e64 v3, s[0:1], 0, v19, s[0:1]
	v_ashrrev_i64 v[2:3], 1, v[2:3]
	v_ldexp_f32 v17, v17, 1
	v_add_co_u32_e64 v12, s[0:1], v2, v28
	v_addc_co_u32_e64 v19, s[0:1], v3, v33, s[0:1]
	v_add_co_u32_e64 v2, s[0:1], v27, v12
	v_addc_co_u32_e64 v3, s[0:1], v31, v19, s[0:1]
	v_mul_lo_u32 v27, v12, s19
	v_mul_lo_u32 v19, v19, s18
	v_mad_u64_u32 v[8:9], s[0:1], v12, s18, v[8:9]
	v_mul_lo_u32 v12, v3, s20
	v_mul_lo_u32 v28, v2, s21
	v_mad_u64_u32 v[25:26], s[0:1], v2, s20, 0
	v_add3_u32 v9, v19, v9, v27
	v_mul_lo_u32 v19, v9, s20
	v_add3_u32 v26, v26, v28, v12
	v_mul_lo_u32 v12, v8, s21
	v_mad_u64_u32 v[27:28], s[0:1], v8, s20, 0
	v_lshlrev_b64 v[8:9], 2, v[25:26]
	v_add_f32_e32 v31, 0x3f2aaaaa, v29
	v_add_co_u32_e64 v8, s[0:1], s12, v8
	v_add3_u32 v28, v28, v12, v19
	v_addc_co_u32_e64 v9, s[0:1], v20, v9, s[0:1]
	v_lshlrev_b64 v[19:20], 2, v[27:28]
	v_add_f32_e32 v32, 0xbf2aaaaa, v31
	v_add_co_u32_e64 v12, s[0:1], s8, v19
	v_addc_co_u32_e64 v13, s[0:1], v13, v20, s[0:1]
	v_sub_f32_e32 v19, v29, v32
	v_add_f32_e32 v20, 0x31739010, v30
	v_add_f32_e32 v25, v20, v19
	v_cvt_f64_f32_e64 v[19:20], |v16|
	v_add_f32_e32 v26, v31, v25
	v_sub_f32_e32 v27, v31, v26
	v_add_f32_e32 v25, v25, v27
	v_frexp_exp_i32_f64_e32 v19, v[19:20]
	v_add_f32_e32 v27, v23, v24
	v_mul_f32_e32 v28, v27, v26
	v_fma_f32 v20, v27, v26, -v28
	v_sub_f32_e32 v23, v27, v23
	v_fmac_f32_e32 v20, v27, v25
	v_sub_f32_e32 v23, v24, v23
	v_fmac_f32_e32 v20, v23, v26
	v_subbrev_co_u32_e32 v19, vcc, 0, v19, vcc
	v_cvt_f32_i32_e32 v19, v19
	v_mul_f32_e32 v23, 0.5, v15
	v_trunc_f32_e32 v24, v23
	v_cmp_neq_f32_e32 vcc, v24, v23
	v_mul_f32_e32 v23, 0x3f317218, v19
	v_fma_f32 v24, v19, s15, -v23
	v_fmac_f32_e32 v24, 0xb102e308, v19
	v_add_f32_e32 v19, v23, v24
	v_sub_f32_e32 v23, v19, v23
	v_sub_f32_e32 v23, v24, v23
	v_add_f32_e32 v24, v28, v20
	v_sub_f32_e32 v25, v24, v28
	v_sub_f32_e32 v20, v20, v25
	v_add_f32_e32 v25, v17, v24
	v_sub_f32_e32 v17, v25, v17
	v_ldexp_f32 v18, v18, 1
	v_sub_f32_e32 v17, v24, v17
	v_add_f32_e32 v18, v18, v20
	v_add_f32_e32 v17, v18, v17
	;; [unrolled: 1-line block ×3, first 2 shown]
	v_sub_f32_e32 v20, v18, v25
	v_sub_f32_e32 v17, v17, v20
	v_add_f32_e32 v20, v19, v18
	v_sub_f32_e32 v24, v20, v19
	v_sub_f32_e32 v25, v20, v24
	;; [unrolled: 1-line block ×4, first 2 shown]
	v_add_f32_e32 v18, v18, v19
	v_add_f32_e32 v19, v23, v17
	v_sub_f32_e32 v24, v19, v23
	v_add_f32_e32 v18, v19, v18
	v_sub_f32_e32 v25, v19, v24
	;; [unrolled: 2-line block ×3, first 2 shown]
	v_sub_f32_e32 v17, v17, v24
	v_sub_f32_e32 v20, v19, v20
	v_add_f32_e32 v17, v17, v23
	v_sub_f32_e32 v18, v18, v20
	v_add_f32_e32 v17, v17, v18
	v_add_f32_e32 v18, v19, v17
	v_sub_f32_e32 v19, v18, v19
	v_sub_f32_e32 v17, v17, v19
	v_mul_f32_e32 v19, v15, v18
	v_fma_f32 v18, v15, v18, -v19
	v_fmac_f32_e32 v18, v15, v17
	v_add_f32_e32 v17, v19, v18
	v_cmp_class_f32_e64 s[0:1], v19, s16
	v_sub_f32_e32 v20, v17, v19
	v_cndmask_b32_e64 v19, v17, v19, s[0:1]
	v_mov_b32_e32 v17, 0x37000000
	v_cmp_eq_f32_e64 s[0:1], s22, v19
	v_cndmask_b32_e64 v23, 0, v17, s[0:1]
	v_sub_f32_e32 v24, v19, v23
	v_sub_f32_e32 v20, v18, v20
	v_mul_f32_e32 v18, 0x3fb8aa3b, v24
	v_fma_f32 v25, v24, s23, -v18
	v_rndne_f32_e32 v26, v18
	v_fmac_f32_e32 v25, 0x32a5705f, v24
	v_sub_f32_e32 v18, v18, v26
	v_add_f32_e32 v25, v18, v25
	global_load_dword v18, v[4:5], off
	v_exp_f32_e32 v4, v25
	v_cvt_i32_f32_e32 v5, v26
	v_cmp_neq_f32_e64 s[0:1], |v19|, s17
	s_mov_b32 s24, 0xc2ce8ed0
	v_cndmask_b32_e64 v19, 0, v20, s[0:1]
	v_ldexp_f32 v4, v4, v5
	v_cmp_ngt_f32_e64 s[0:1], s24, v24
	v_add_f32_e32 v20, v23, v19
	v_cndmask_b32_e64 v4, 0, v4, s[0:1]
	v_mov_b32_e32 v19, 0x7f800000
	v_cmp_nlt_f32_e64 s[0:1], s22, v24
	v_cndmask_b32_e64 v4, v19, v4, s[0:1]
	v_fma_f32 v5, v4, v20, v4
	v_cmp_class_f32_e64 s[0:1], v4, s16
	v_cndmask_b32_e64 v4, v5, v4, s[0:1]
	v_trunc_f32_e32 v5, v15
	v_cmp_eq_f32_e64 s[0:1], v5, v15
	s_and_b64 vcc, s[0:1], vcc
	v_cndmask_b32_e32 v5, 1.0, v16, vcc
	v_mov_b32_e32 v20, 0x7fc00000
	v_bfi_b32 v4, s10, v4, v5
	v_cndmask_b32_e64 v5, v20, v4, s[0:1]
	v_cmp_gt_f32_e64 s[0:1], 0, v16
	v_cndmask_b32_e64 v4, v4, v5, s[0:1]
	v_cmp_neq_f32_e64 s[0:1], v15, |v15|
	v_cmp_lt_f32_e64 s[4:5], |v16|, 1.0
	s_xor_b64 s[0:1], s[0:1], s[4:5]
	v_cndmask_b32_e64 v5, v19, 0, s[0:1]
	v_cmp_neq_f32_e64 s[0:1], |v16|, 1.0
	v_cndmask_b32_e64 v5, 1.0, v5, s[0:1]
	v_cmp_class_f32_e64 s[0:1], v15, s16
	v_cndmask_b32_e64 v4, v4, v5, s[0:1]
	v_add_co_u32_e64 v5, s[0:1], -2, v21
	v_addc_co_u32_e64 v21, s[0:1], -1, v22, s[0:1]
	v_mad_u64_u32 v[2:3], s[0:1], v5, s18, v[2:3]
	v_mul_lo_u32 v5, v5, s19
	v_mul_lo_u32 v21, v21, s18
	v_cmp_gt_f32_e64 s[0:1], 0, v15
	v_cndmask_b32_e64 v22, v19, 0, s[0:1]
	v_cndmask_b32_e32 v23, 0, v16, vcc
	v_add3_u32 v3, v21, v3, v5
	v_mul_lo_u32 v5, s21, v2
	v_mul_lo_u32 v21, s20, v3
	v_mad_u64_u32 v[2:3], s[0:1], s20, v2, 0
	v_bfi_b32 v22, s10, v22, v23
	v_cmp_class_f32_e64 vcc, v16, s16
	v_add3_u32 v3, v3, v21, v5
	v_lshlrev_b64 v[2:3], 2, v[2:3]
	v_cndmask_b32_e32 v23, v4, v22, vcc
	s_lshl_b64 s[0:1], s[20:21], 2
	v_mov_b32_e32 v4, s9
	v_add_co_u32_e32 v21, vcc, s8, v2
	v_addc_co_u32_e32 v22, vcc, v4, v3, vcc
	v_mov_b32_e32 v3, s1
	s_load_dword s1, s[2:3], 0x4
	v_add_co_u32_e32 v2, vcc, s0, v6
	v_addc_co_u32_e32 v3, vcc, v7, v3, vcc
	v_add_co_u32_e32 v4, vcc, v6, v0
	s_waitcnt lgkmcnt(0)
	s_mul_i32 s2, s1, s6
	v_addc_co_u32_e32 v5, vcc, v7, v1, vcc
	v_cmp_o_f32_e32 vcc, v16, v15
	s_ashr_i32 s3, s2, 31
	v_cmp_eq_f32_e64 s[0:1], 0, v14
	v_cmp_lt_f32_e64 s[6:7], s7, 1.0
	v_cndmask_b32_e32 v14, v20, v23, vcc
	s_lshl_b64 s[8:9], s[2:3], 2
	s_mov_b64 s[10:11], 0
	s_branch .LBB27_4
.LBB27_3:                               ;   in Loop: Header=BB27_4 Depth=1
	s_or_b64 exec, exec, s[12:13]
	v_add_co_u32_e32 v23, vcc, v21, v0
	v_addc_co_u32_e32 v24, vcc, v22, v1, vcc
	v_add_co_u32_e32 v25, vcc, v12, v0
	v_addc_co_u32_e32 v26, vcc, v13, v1, vcc
	v_mov_b32_e32 v16, s9
	v_add_co_u32_e32 v4, vcc, s8, v4
	v_addc_co_u32_e32 v5, vcc, v5, v16, vcc
	v_cmp_ge_u64_e32 vcc, v[4:5], v[2:3]
	global_store_dword v[25:26], v15, off
	s_or_b64 s[10:11], vcc, s[10:11]
	v_add_co_u32_e32 v0, vcc, s8, v0
	v_xor_b32_e32 v15, 0x80000000, v15
	v_addc_co_u32_e32 v1, vcc, v1, v16, vcc
	global_store_dword v[23:24], v15, off
	s_andn2_b64 exec, exec, s[10:11]
	s_cbranch_execz .LBB27_6
.LBB27_4:                               ; =>This Inner Loop Header: Depth=1
	v_add_co_u32_e32 v15, vcc, v8, v0
	v_addc_co_u32_e32 v16, vcc, v9, v1, vcc
	v_add_co_u32_e32 v23, vcc, v6, v0
	v_addc_co_u32_e32 v24, vcc, v7, v1, vcc
	global_load_dword v25, v[23:24], off
	global_load_dword v26, v[15:16], off
	v_mov_b32_e32 v15, 0
	s_waitcnt vmcnt(0)
	v_sub_f32_e32 v23, v25, v26
	v_cmp_eq_f32_e32 vcc, 0, v23
	s_and_b64 s[2:3], s[6:7], vcc
	s_nor_b64 s[2:3], s[0:1], s[2:3]
	s_and_saveexec_b64 s[12:13], s[2:3]
	s_cbranch_execz .LBB27_3
; %bb.5:                                ;   in Loop: Header=BB27_4 Depth=1
	v_cmp_lt_f32_e32 vcc, 0, v23
	v_cndmask_b32_e64 v15, 0, 1, vcc
	v_cmp_gt_f32_e32 vcc, 0, v23
	v_subbrev_co_u32_e32 v15, vcc, 0, v15, vcc
	v_cmp_neq_f32_e64 vcc, |v23|, 1.0
	v_cndmask_b32_e32 v16, 1.0, v11, vcc
	v_cmp_neq_f32_e32 vcc, 0, v16
	v_cndmask_b32_e64 v23, 1.0, |v23|, vcc
	v_frexp_mant_f32_e32 v24, v23
	v_cmp_gt_f32_e32 vcc, s14, v24
	v_cndmask_b32_e64 v25, 1.0, 2.0, vcc
	v_mul_f32_e32 v24, v24, v25
	v_add_f32_e32 v25, 1.0, v24
	v_rcp_f32_e32 v26, v25
	v_add_f32_e32 v27, -1.0, v24
	v_add_f32_e32 v28, -1.0, v25
	v_sub_f32_e32 v24, v24, v28
	v_mul_f32_e32 v28, v27, v26
	v_mul_f32_e32 v29, v25, v28
	v_fma_f32 v25, v28, v25, -v29
	v_fmac_f32_e32 v25, v28, v24
	v_add_f32_e32 v24, v29, v25
	v_sub_f32_e32 v30, v27, v24
	v_sub_f32_e32 v29, v24, v29
	;; [unrolled: 1-line block ×5, first 2 shown]
	v_add_f32_e32 v24, v25, v24
	v_add_f32_e32 v24, v30, v24
	v_mul_f32_e32 v24, v26, v24
	v_add_f32_e32 v26, v28, v24
	v_sub_f32_e32 v25, v26, v28
	v_sub_f32_e32 v27, v24, v25
	v_mul_f32_e32 v24, v26, v26
	v_fma_f32 v25, v26, v26, -v24
	v_add_f32_e32 v28, v27, v27
	v_fmac_f32_e32 v25, v26, v28
	v_add_f32_e32 v28, v24, v25
	v_sub_f32_e32 v24, v28, v24
	v_sub_f32_e32 v24, v25, v24
	v_mul_f32_e32 v25, v26, v28
	v_fma_f32 v30, v28, v26, -v25
	v_fmac_f32_e32 v30, v28, v27
	v_mov_b32_e32 v29, 0x3e91f4c4
	v_fmac_f32_e32 v30, v24, v26
	v_fmac_f32_e32 v29, 0x3e76c4e1, v28
	v_add_f32_e32 v31, v25, v30
	v_fma_f32 v29, v28, v29, v10
	v_sub_f32_e32 v25, v31, v25
	v_sub_f32_e32 v30, v30, v25
	v_mul_f32_e32 v25, v28, v29
	v_fma_f32 v28, v28, v29, -v25
	v_fmac_f32_e32 v28, v24, v29
	v_add_f32_e32 v29, v25, v28
	v_sub_f32_e32 v33, v29, v25
	v_cvt_f64_f32_e32 v[24:25], v23
	v_add_f32_e32 v32, 0x3f2aaaaa, v29
	v_sub_f32_e32 v28, v28, v33
	v_add_f32_e32 v33, 0xbf2aaaaa, v32
	v_frexp_exp_i32_f64_e32 v24, v[24:25]
	v_add_f32_e32 v28, 0x31739010, v28
	v_sub_f32_e32 v25, v29, v33
	v_add_f32_e32 v25, v28, v25
	v_add_f32_e32 v28, v32, v25
	v_sub_f32_e32 v29, v32, v28
	v_add_f32_e32 v25, v25, v29
	v_mul_f32_e32 v29, v31, v28
	v_subbrev_co_u32_e32 v24, vcc, 0, v24, vcc
	v_cvt_f32_i32_e32 v24, v24
	v_fma_f32 v32, v31, v28, -v29
	v_fmac_f32_e32 v32, v31, v25
	v_fmac_f32_e32 v32, v30, v28
	v_mul_f32_e32 v25, 0x3f317218, v24
	v_fma_f32 v28, v24, s15, -v25
	v_fmac_f32_e32 v28, 0xb102e308, v24
	v_ldexp_f32 v24, v27, 1
	v_add_f32_e32 v27, v25, v28
	v_sub_f32_e32 v25, v27, v25
	v_ldexp_f32 v26, v26, 1
	v_sub_f32_e32 v25, v28, v25
	v_add_f32_e32 v28, v29, v32
	v_sub_f32_e32 v29, v28, v29
	v_add_f32_e32 v30, v26, v28
	v_sub_f32_e32 v29, v32, v29
	v_sub_f32_e32 v26, v30, v26
	;; [unrolled: 1-line block ×3, first 2 shown]
	v_add_f32_e32 v24, v24, v29
	v_add_f32_e32 v24, v24, v26
	;; [unrolled: 1-line block ×3, first 2 shown]
	v_sub_f32_e32 v28, v26, v30
	v_sub_f32_e32 v24, v24, v28
	v_add_f32_e32 v28, v27, v26
	v_sub_f32_e32 v29, v28, v27
	v_sub_f32_e32 v30, v28, v29
	v_sub_f32_e32 v27, v27, v30
	v_sub_f32_e32 v26, v26, v29
	v_add_f32_e32 v26, v26, v27
	v_add_f32_e32 v27, v25, v24
	v_sub_f32_e32 v29, v27, v25
	v_sub_f32_e32 v30, v27, v29
	;; [unrolled: 1-line block ×4, first 2 shown]
	v_add_f32_e32 v24, v24, v25
	v_add_f32_e32 v25, v27, v26
	;; [unrolled: 1-line block ×3, first 2 shown]
	v_sub_f32_e32 v27, v26, v28
	v_sub_f32_e32 v25, v25, v27
	v_add_f32_e32 v24, v24, v25
	v_add_f32_e32 v25, v26, v24
	v_sub_f32_e32 v26, v25, v26
	v_sub_f32_e32 v24, v24, v26
	v_mul_f32_e32 v26, v16, v25
	v_fma_f32 v25, v16, v25, -v26
	v_fmac_f32_e32 v25, v16, v24
	v_add_f32_e32 v24, v26, v25
	v_cmp_class_f32_e64 vcc, v26, s16
	v_sub_f32_e32 v27, v24, v26
	v_cndmask_b32_e32 v24, v24, v26, vcc
	v_cmp_eq_f32_e32 vcc, s22, v24
	v_cndmask_b32_e32 v26, 0, v17, vcc
	v_sub_f32_e32 v25, v25, v27
	v_sub_f32_e32 v27, v24, v26
	v_mul_f32_e32 v28, 0x3fb8aa3b, v27
	v_fma_f32 v29, v27, s23, -v28
	v_rndne_f32_e32 v30, v28
	v_fmac_f32_e32 v29, 0x32a5705f, v27
	v_sub_f32_e32 v28, v28, v30
	v_add_f32_e32 v28, v28, v29
	v_exp_f32_e32 v28, v28
	v_cvt_i32_f32_e32 v29, v30
	v_cmp_neq_f32_e64 vcc, |v24|, s17
	v_cndmask_b32_e32 v24, 0, v25, vcc
	v_cmp_ngt_f32_e32 vcc, s24, v27
	v_ldexp_f32 v25, v28, v29
	v_cndmask_b32_e32 v25, 0, v25, vcc
	v_cmp_nlt_f32_e32 vcc, s22, v27
	v_add_f32_e32 v24, v26, v24
	v_cndmask_b32_e32 v25, v19, v25, vcc
	v_fma_f32 v24, v25, v24, v25
	v_cmp_class_f32_e64 vcc, v25, s16
	v_cndmask_b32_e32 v24, v24, v25, vcc
	v_cmp_neq_f32_e64 s[2:3], v16, |v16|
	v_cmp_gt_f32_e32 vcc, 1.0, v23
	s_xor_b64 s[2:3], s[2:3], vcc
	v_cndmask_b32_e64 v25, v19, 0, s[2:3]
	v_cmp_neq_f32_e32 vcc, 1.0, v23
	v_cndmask_b32_e32 v25, 1.0, v25, vcc
	v_cmp_class_f32_e64 s[2:3], v16, s16
	v_cndmask_b32_e64 v24, |v24|, v25, s[2:3]
	v_cmp_eq_f32_e64 s[2:3], 0, v23
	v_cmp_gt_f32_e64 s[4:5], 0, v16
	v_cvt_f32_i32_e32 v15, v15
	v_cmp_eq_f32_e32 vcc, s17, v23
	s_xor_b64 s[4:5], s[4:5], s[2:3]
	v_cndmask_b32_e64 v25, v19, 0, s[4:5]
	s_or_b64 vcc, s[2:3], vcc
	v_cndmask_b32_e32 v24, v24, v25, vcc
	v_cmp_o_f32_e32 vcc, v23, v16
	v_cndmask_b32_e32 v16, v20, v24, vcc
	v_mul_f32_e32 v15, v16, v15
	v_mul_f32_e32 v15, v18, v15
	v_div_scale_f32 v16, s[2:3], v14, v14, v15
	v_div_scale_f32 v23, vcc, v15, v14, v15
	v_rcp_f32_e32 v24, v16
	v_fma_f32 v25, -v16, v24, 1.0
	v_fmac_f32_e32 v24, v25, v24
	v_mul_f32_e32 v25, v23, v24
	v_fma_f32 v26, -v16, v25, v23
	v_fmac_f32_e32 v25, v26, v24
	v_fma_f32 v16, -v16, v25, v23
	v_div_fmas_f32 v16, v16, v24, v25
	v_div_fixup_f32 v15, v16, v14, v15
	s_branch .LBB27_3
.LBB27_6:
	s_endpgm
	.section	.rodata,"a",@progbits
	.p2align	6, 0x0
	.amdhsa_kernel _ZN2at6native12_GLOBAL__N_131pdist_backward_kernel_cuda_implIfNS1_5distsIfE6lt_twoEEEvPT_PKS6_S9_S9_llllS6_dd
		.amdhsa_group_segment_fixed_size 0
		.amdhsa_private_segment_fixed_size 0
		.amdhsa_kernarg_size 344
		.amdhsa_user_sgpr_count 6
		.amdhsa_user_sgpr_private_segment_buffer 1
		.amdhsa_user_sgpr_dispatch_ptr 0
		.amdhsa_user_sgpr_queue_ptr 0
		.amdhsa_user_sgpr_kernarg_segment_ptr 1
		.amdhsa_user_sgpr_dispatch_id 0
		.amdhsa_user_sgpr_flat_scratch_init 0
		.amdhsa_user_sgpr_private_segment_size 0
		.amdhsa_uses_dynamic_stack 0
		.amdhsa_system_sgpr_private_segment_wavefront_offset 0
		.amdhsa_system_sgpr_workgroup_id_x 1
		.amdhsa_system_sgpr_workgroup_id_y 1
		.amdhsa_system_sgpr_workgroup_id_z 0
		.amdhsa_system_sgpr_workgroup_info 0
		.amdhsa_system_vgpr_workitem_id 1
		.amdhsa_next_free_vgpr 35
		.amdhsa_next_free_sgpr 28
		.amdhsa_reserve_vcc 1
		.amdhsa_reserve_flat_scratch 0
		.amdhsa_float_round_mode_32 0
		.amdhsa_float_round_mode_16_64 0
		.amdhsa_float_denorm_mode_32 3
		.amdhsa_float_denorm_mode_16_64 3
		.amdhsa_dx10_clamp 1
		.amdhsa_ieee_mode 1
		.amdhsa_fp16_overflow 0
		.amdhsa_exception_fp_ieee_invalid_op 0
		.amdhsa_exception_fp_denorm_src 0
		.amdhsa_exception_fp_ieee_div_zero 0
		.amdhsa_exception_fp_ieee_overflow 0
		.amdhsa_exception_fp_ieee_underflow 0
		.amdhsa_exception_fp_ieee_inexact 0
		.amdhsa_exception_int_div_zero 0
	.end_amdhsa_kernel
	.section	.text._ZN2at6native12_GLOBAL__N_131pdist_backward_kernel_cuda_implIfNS1_5distsIfE6lt_twoEEEvPT_PKS6_S9_S9_llllS6_dd,"axG",@progbits,_ZN2at6native12_GLOBAL__N_131pdist_backward_kernel_cuda_implIfNS1_5distsIfE6lt_twoEEEvPT_PKS6_S9_S9_llllS6_dd,comdat
.Lfunc_end27:
	.size	_ZN2at6native12_GLOBAL__N_131pdist_backward_kernel_cuda_implIfNS1_5distsIfE6lt_twoEEEvPT_PKS6_S9_S9_llllS6_dd, .Lfunc_end27-_ZN2at6native12_GLOBAL__N_131pdist_backward_kernel_cuda_implIfNS1_5distsIfE6lt_twoEEEvPT_PKS6_S9_S9_llllS6_dd
                                        ; -- End function
	.set _ZN2at6native12_GLOBAL__N_131pdist_backward_kernel_cuda_implIfNS1_5distsIfE6lt_twoEEEvPT_PKS6_S9_S9_llllS6_dd.num_vgpr, 35
	.set _ZN2at6native12_GLOBAL__N_131pdist_backward_kernel_cuda_implIfNS1_5distsIfE6lt_twoEEEvPT_PKS6_S9_S9_llllS6_dd.num_agpr, 0
	.set _ZN2at6native12_GLOBAL__N_131pdist_backward_kernel_cuda_implIfNS1_5distsIfE6lt_twoEEEvPT_PKS6_S9_S9_llllS6_dd.numbered_sgpr, 28
	.set _ZN2at6native12_GLOBAL__N_131pdist_backward_kernel_cuda_implIfNS1_5distsIfE6lt_twoEEEvPT_PKS6_S9_S9_llllS6_dd.num_named_barrier, 0
	.set _ZN2at6native12_GLOBAL__N_131pdist_backward_kernel_cuda_implIfNS1_5distsIfE6lt_twoEEEvPT_PKS6_S9_S9_llllS6_dd.private_seg_size, 0
	.set _ZN2at6native12_GLOBAL__N_131pdist_backward_kernel_cuda_implIfNS1_5distsIfE6lt_twoEEEvPT_PKS6_S9_S9_llllS6_dd.uses_vcc, 1
	.set _ZN2at6native12_GLOBAL__N_131pdist_backward_kernel_cuda_implIfNS1_5distsIfE6lt_twoEEEvPT_PKS6_S9_S9_llllS6_dd.uses_flat_scratch, 0
	.set _ZN2at6native12_GLOBAL__N_131pdist_backward_kernel_cuda_implIfNS1_5distsIfE6lt_twoEEEvPT_PKS6_S9_S9_llllS6_dd.has_dyn_sized_stack, 0
	.set _ZN2at6native12_GLOBAL__N_131pdist_backward_kernel_cuda_implIfNS1_5distsIfE6lt_twoEEEvPT_PKS6_S9_S9_llllS6_dd.has_recursion, 0
	.set _ZN2at6native12_GLOBAL__N_131pdist_backward_kernel_cuda_implIfNS1_5distsIfE6lt_twoEEEvPT_PKS6_S9_S9_llllS6_dd.has_indirect_call, 0
	.section	.AMDGPU.csdata,"",@progbits
; Kernel info:
; codeLenInByte = 3020
; TotalNumSgprs: 32
; NumVgprs: 35
; ScratchSize: 0
; MemoryBound: 0
; FloatMode: 240
; IeeeMode: 1
; LDSByteSize: 0 bytes/workgroup (compile time only)
; SGPRBlocks: 3
; VGPRBlocks: 8
; NumSGPRsForWavesPerEU: 32
; NumVGPRsForWavesPerEU: 35
; Occupancy: 7
; WaveLimiterHint : 0
; COMPUTE_PGM_RSRC2:SCRATCH_EN: 0
; COMPUTE_PGM_RSRC2:USER_SGPR: 6
; COMPUTE_PGM_RSRC2:TRAP_HANDLER: 0
; COMPUTE_PGM_RSRC2:TGID_X_EN: 1
; COMPUTE_PGM_RSRC2:TGID_Y_EN: 1
; COMPUTE_PGM_RSRC2:TGID_Z_EN: 0
; COMPUTE_PGM_RSRC2:TIDIG_COMP_CNT: 1
	.section	.text._ZN2at6native12_GLOBAL__N_131pdist_backward_kernel_cuda_implIfNS1_5distsIfE3twoEEEvPT_PKS6_S9_S9_llllS6_dd,"axG",@progbits,_ZN2at6native12_GLOBAL__N_131pdist_backward_kernel_cuda_implIfNS1_5distsIfE3twoEEEvPT_PKS6_S9_S9_llllS6_dd,comdat
	.globl	_ZN2at6native12_GLOBAL__N_131pdist_backward_kernel_cuda_implIfNS1_5distsIfE3twoEEEvPT_PKS6_S9_S9_llllS6_dd ; -- Begin function _ZN2at6native12_GLOBAL__N_131pdist_backward_kernel_cuda_implIfNS1_5distsIfE3twoEEEvPT_PKS6_S9_S9_llllS6_dd
	.p2align	8
	.type	_ZN2at6native12_GLOBAL__N_131pdist_backward_kernel_cuda_implIfNS1_5distsIfE3twoEEEvPT_PKS6_S9_S9_llllS6_dd,@function
_ZN2at6native12_GLOBAL__N_131pdist_backward_kernel_cuda_implIfNS1_5distsIfE3twoEEEvPT_PKS6_S9_S9_llllS6_dd: ; @_ZN2at6native12_GLOBAL__N_131pdist_backward_kernel_cuda_implIfNS1_5distsIfE3twoEEEvPT_PKS6_S9_S9_llllS6_dd
; %bb.0:
	s_load_dword s2, s[4:5], 0x64
	s_load_dwordx16 s[8:23], s[4:5], 0x0
	s_add_u32 s0, s4, 0x58
	v_mov_b32_e32 v2, v0
	s_addc_u32 s1, s5, 0
	v_mov_b32_e32 v3, 0
	s_waitcnt lgkmcnt(0)
	s_and_b32 s3, s2, 0xffff
	v_mov_b32_e32 v0, s6
	v_mad_u64_u32 v[2:3], s[24:25], s3, v0, v[2:3]
	v_cmp_gt_i64_e32 vcc, s[22:23], v[2:3]
	s_and_saveexec_b64 s[22:23], vcc
	s_cbranch_execz .LBB28_6
; %bb.1:
	s_lshr_b32 s6, s2, 16
	s_mul_i32 s7, s7, s6
	v_add_u32_e32 v0, s7, v1
	v_ashrrev_i32_e32 v1, 31, v0
	v_cmp_gt_i64_e32 vcc, s[20:21], v[0:1]
	s_and_b64 exec, exec, vcc
	s_cbranch_execz .LBB28_6
; %bb.2:
	v_lshlrev_b64 v[4:5], 1, v[2:3]
	s_load_dwordx4 s[24:27], s[4:5], 0x48
	v_cvt_f64_u32_e32 v[5:6], v5
	v_cvt_f64_u32_e32 v[7:8], v4
	s_mov_b32 s2, 0
	s_brev_b32 s3, 8
	v_ldexp_f64 v[5:6], v[5:6], 32
	v_mul_lo_u32 v12, v2, s17
	s_load_dword s4, s[0:1], 0x4
	s_mov_b32 s0, 0
	s_mov_b32 s1, 0xc1f00000
	v_mov_b32_e32 v14, s11
	v_mov_b32_e32 v16, s13
	v_lshlrev_b64 v[0:1], 2, v[0:1]
	v_add_f64 v[4:5], v[5:6], v[7:8]
	v_mov_b32_e32 v6, 0x100
	v_mov_b32_e32 v22, s9
	s_waitcnt lgkmcnt(0)
	v_add_f64 v[4:5], s[26:27], -v[4:5]
	v_cmp_gt_f64_e32 vcc, s[2:3], v[4:5]
	s_movk_i32 s2, 0xffe0
	v_cndmask_b32_e32 v6, 0, v6, vcc
	v_ldexp_f64 v[4:5], v[4:5], v6
	v_rsq_f64_e32 v[6:7], v[4:5]
	v_mul_f64 v[8:9], v[4:5], v[6:7]
	v_mul_f64 v[6:7], v[6:7], 0.5
	v_fma_f64 v[10:11], -v[6:7], v[8:9], 0.5
	v_fma_f64 v[8:9], v[8:9], v[10:11], v[8:9]
	v_fma_f64 v[6:7], v[6:7], v[10:11], v[6:7]
	v_fma_f64 v[10:11], -v[8:9], v[8:9], v[4:5]
	v_fma_f64 v[8:9], v[10:11], v[6:7], v[8:9]
	v_fma_f64 v[10:11], -v[8:9], v[8:9], v[4:5]
	v_fma_f64 v[6:7], v[10:11], v[6:7], v[8:9]
	v_mov_b32_e32 v8, 0xffffff80
	v_mov_b32_e32 v9, 0x260
	v_cndmask_b32_e32 v8, 0, v8, vcc
	v_cmp_class_f64_e32 vcc, v[4:5], v9
	v_mul_lo_u32 v11, v3, s16
	v_ldexp_f64 v[6:7], v[6:7], v8
	v_mov_b32_e32 v8, s15
	v_cndmask_b32_e32 v5, v7, v5, vcc
	v_cndmask_b32_e32 v4, v6, v4, vcc
	v_add_f64 v[4:5], s[24:25], -v[4:5]
	v_lshlrev_b64 v[6:7], 2, v[2:3]
	v_add_co_u32_e32 v6, vcc, s14, v6
	v_addc_co_u32_e32 v7, vcc, v8, v7, vcc
	global_load_dword v6, v[6:7], off
	v_trunc_f64_e32 v[4:5], v[4:5]
	v_ldexp_f64 v[8:9], v[4:5], s2
	v_floor_f64_e32 v[7:8], v[8:9]
	v_mad_u64_u32 v[9:10], s[2:3], v2, s16, 0
	s_lshl_b64 s[2:3], s[20:21], 2
	v_add3_u32 v10, v10, v12, v11
	v_lshlrev_b64 v[9:10], 2, v[9:10]
	v_fma_f64 v[4:5], v[7:8], s[0:1], v[4:5]
	v_cvt_i32_f64_e32 v13, v[7:8]
	v_add_co_u32_e32 v7, vcc, s10, v9
	v_addc_co_u32_e32 v8, vcc, v14, v10, vcc
	global_load_dword v7, v[7:8], off
	v_mul_lo_u32 v10, s20, v13
	v_cvt_u32_f64_e32 v12, v[4:5]
	v_mul_lo_u32 v14, s18, v13
	v_mul_lo_u32 v11, s21, v12
	v_mad_u64_u32 v[4:5], s[0:1], s20, v12, 0
	v_mul_lo_u32 v18, s19, v12
	v_mad_u64_u32 v[8:9], s[0:1], s18, v12, 0
	v_add_co_u32_e32 v15, vcc, 1, v12
	v_addc_co_u32_e32 v17, vcc, 0, v13, vcc
	v_mul_lo_u32 v19, v17, v12
	v_add3_u32 v5, v5, v10, v11
	v_mad_u64_u32 v[10:11], s[0:1], v15, v12, 0
	v_add3_u32 v9, v9, v14, v18
	v_mul_lo_u32 v14, v15, v13
	v_sub_co_u32_e32 v8, vcc, v2, v8
	v_subb_co_u32_e32 v9, vcc, v3, v9, vcc
	v_add3_u32 v11, v11, v14, v19
	v_lshrrev_b32_e32 v2, 31, v11
	v_add_co_u32_e32 v2, vcc, v10, v2
	v_addc_co_u32_e32 v3, vcc, 0, v11, vcc
	v_ashrrev_i64 v[2:3], 1, v[2:3]
	v_lshlrev_b64 v[4:5], 2, v[4:5]
	v_add_co_u32_e32 v20, vcc, v2, v8
	v_addc_co_u32_e32 v21, vcc, v3, v9, vcc
	v_add_co_u32_e32 v14, vcc, v15, v20
	v_addc_co_u32_e32 v15, vcc, v17, v21, vcc
	v_mul_lo_u32 v10, v15, s20
	v_mul_lo_u32 v11, v14, s21
	v_mad_u64_u32 v[2:3], s[0:1], v14, s20, 0
	v_add_co_u32_e32 v8, vcc, s12, v4
	v_add3_u32 v3, v3, v11, v10
	v_lshlrev_b64 v[2:3], 2, v[2:3]
	v_addc_co_u32_e32 v9, vcc, v16, v5, vcc
	v_mov_b32_e32 v4, s13
	v_add_co_u32_e32 v10, vcc, s12, v2
	v_addc_co_u32_e32 v11, vcc, v4, v3, vcc
	v_mov_b32_e32 v5, s3
	v_add_co_u32_e32 v2, vcc, s2, v8
	v_addc_co_u32_e32 v3, vcc, v9, v5, vcc
	v_mov_b32_e32 v18, s19
	v_sub_co_u32_e32 v4, vcc, s18, v12
	v_subb_co_u32_e32 v5, vcc, v18, v13, vcc
	v_add_co_u32_e32 v16, vcc, -2, v4
	v_addc_co_u32_e32 v17, vcc, -1, v5, vcc
	v_mad_u64_u32 v[4:5], s[2:3], v20, s18, v[12:13]
	v_mul_lo_u32 v18, v20, s19
	v_mul_lo_u32 v20, v21, s18
	v_mad_u64_u32 v[12:13], s[2:3], v16, s18, v[14:15]
	v_mul_lo_u32 v16, v16, s19
	v_mul_lo_u32 v17, v17, s18
	v_add3_u32 v5, v20, v5, v18
	v_mul_lo_u32 v18, v4, s21
	v_mad_u64_u32 v[14:15], s[2:3], v4, s20, 0
	v_mul_lo_u32 v5, v5, s20
	v_add3_u32 v4, v17, v13, v16
	v_mul_lo_u32 v16, s21, v12
	v_mad_u64_u32 v[12:13], s[2:3], s20, v12, 0
	v_mul_lo_u32 v17, s20, v4
	v_add3_u32 v15, v15, v18, v5
	v_add_co_u32_e32 v4, vcc, v8, v0
	v_lshlrev_b64 v[14:15], 2, v[14:15]
	v_addc_co_u32_e32 v5, vcc, v9, v1, vcc
	v_add3_u32 v13, v13, v17, v16
	v_mov_b32_e32 v19, s9
	v_lshlrev_b64 v[16:17], 2, v[12:13]
	v_add_co_u32_e32 v12, vcc, s8, v14
	s_mul_i32 s0, s4, s6
	v_addc_co_u32_e32 v13, vcc, v19, v15, vcc
	s_ashr_i32 s1, s0, 31
	v_add_co_u32_e32 v14, vcc, s8, v16
	s_lshl_b64 s[4:5], s[0:1], 2
	s_waitcnt vmcnt(1)
	v_cmp_neq_f32_e64 s[0:1], 0, v6
	v_addc_co_u32_e32 v15, vcc, v22, v17, vcc
	s_mov_b64 s[2:3], 0
	s_branch .LBB28_4
.LBB28_3:                               ;   in Loop: Header=BB28_4 Depth=1
	s_or_b64 exec, exec, s[6:7]
	v_add_co_u32_e32 v17, vcc, v14, v0
	v_addc_co_u32_e32 v18, vcc, v15, v1, vcc
	v_add_co_u32_e32 v19, vcc, v12, v0
	v_addc_co_u32_e32 v20, vcc, v13, v1, vcc
	global_store_dword v[19:20], v16, off
	v_mov_b32_e32 v19, s5
	v_add_co_u32_e32 v4, vcc, s4, v4
	v_addc_co_u32_e32 v5, vcc, v5, v19, vcc
	v_cmp_ge_u64_e32 vcc, v[4:5], v[2:3]
	v_xor_b32_e32 v16, 0x80000000, v16
	s_or_b64 s[2:3], vcc, s[2:3]
	v_add_co_u32_e32 v0, vcc, s4, v0
	v_addc_co_u32_e32 v1, vcc, v1, v19, vcc
	global_store_dword v[17:18], v16, off
	s_andn2_b64 exec, exec, s[2:3]
	s_cbranch_execz .LBB28_6
.LBB28_4:                               ; =>This Inner Loop Header: Depth=1
	v_mov_b32_e32 v16, 0
	s_and_saveexec_b64 s[6:7], s[0:1]
	s_cbranch_execz .LBB28_3
; %bb.5:                                ;   in Loop: Header=BB28_4 Depth=1
	v_add_co_u32_e32 v16, vcc, v10, v0
	v_addc_co_u32_e32 v17, vcc, v11, v1, vcc
	v_add_co_u32_e32 v18, vcc, v8, v0
	v_addc_co_u32_e32 v19, vcc, v9, v1, vcc
	global_load_dword v20, v[18:19], off
	global_load_dword v21, v[16:17], off
	s_waitcnt vmcnt(0)
	v_sub_f32_e32 v16, v20, v21
	v_mul_f32_e32 v16, v7, v16
	v_div_scale_f32 v17, s[8:9], v6, v6, v16
	v_div_scale_f32 v18, vcc, v16, v6, v16
	v_rcp_f32_e32 v19, v17
	v_fma_f32 v20, -v17, v19, 1.0
	v_fmac_f32_e32 v19, v20, v19
	v_mul_f32_e32 v20, v18, v19
	v_fma_f32 v21, -v17, v20, v18
	v_fmac_f32_e32 v20, v21, v19
	v_fma_f32 v17, -v17, v20, v18
	v_div_fmas_f32 v17, v17, v19, v20
	v_div_fixup_f32 v16, v17, v6, v16
	s_branch .LBB28_3
.LBB28_6:
	s_endpgm
	.section	.rodata,"a",@progbits
	.p2align	6, 0x0
	.amdhsa_kernel _ZN2at6native12_GLOBAL__N_131pdist_backward_kernel_cuda_implIfNS1_5distsIfE3twoEEEvPT_PKS6_S9_S9_llllS6_dd
		.amdhsa_group_segment_fixed_size 0
		.amdhsa_private_segment_fixed_size 0
		.amdhsa_kernarg_size 344
		.amdhsa_user_sgpr_count 6
		.amdhsa_user_sgpr_private_segment_buffer 1
		.amdhsa_user_sgpr_dispatch_ptr 0
		.amdhsa_user_sgpr_queue_ptr 0
		.amdhsa_user_sgpr_kernarg_segment_ptr 1
		.amdhsa_user_sgpr_dispatch_id 0
		.amdhsa_user_sgpr_flat_scratch_init 0
		.amdhsa_user_sgpr_private_segment_size 0
		.amdhsa_uses_dynamic_stack 0
		.amdhsa_system_sgpr_private_segment_wavefront_offset 0
		.amdhsa_system_sgpr_workgroup_id_x 1
		.amdhsa_system_sgpr_workgroup_id_y 1
		.amdhsa_system_sgpr_workgroup_id_z 0
		.amdhsa_system_sgpr_workgroup_info 0
		.amdhsa_system_vgpr_workitem_id 1
		.amdhsa_next_free_vgpr 23
		.amdhsa_next_free_sgpr 28
		.amdhsa_reserve_vcc 1
		.amdhsa_reserve_flat_scratch 0
		.amdhsa_float_round_mode_32 0
		.amdhsa_float_round_mode_16_64 0
		.amdhsa_float_denorm_mode_32 3
		.amdhsa_float_denorm_mode_16_64 3
		.amdhsa_dx10_clamp 1
		.amdhsa_ieee_mode 1
		.amdhsa_fp16_overflow 0
		.amdhsa_exception_fp_ieee_invalid_op 0
		.amdhsa_exception_fp_denorm_src 0
		.amdhsa_exception_fp_ieee_div_zero 0
		.amdhsa_exception_fp_ieee_overflow 0
		.amdhsa_exception_fp_ieee_underflow 0
		.amdhsa_exception_fp_ieee_inexact 0
		.amdhsa_exception_int_div_zero 0
	.end_amdhsa_kernel
	.section	.text._ZN2at6native12_GLOBAL__N_131pdist_backward_kernel_cuda_implIfNS1_5distsIfE3twoEEEvPT_PKS6_S9_S9_llllS6_dd,"axG",@progbits,_ZN2at6native12_GLOBAL__N_131pdist_backward_kernel_cuda_implIfNS1_5distsIfE3twoEEEvPT_PKS6_S9_S9_llllS6_dd,comdat
.Lfunc_end28:
	.size	_ZN2at6native12_GLOBAL__N_131pdist_backward_kernel_cuda_implIfNS1_5distsIfE3twoEEEvPT_PKS6_S9_S9_llllS6_dd, .Lfunc_end28-_ZN2at6native12_GLOBAL__N_131pdist_backward_kernel_cuda_implIfNS1_5distsIfE3twoEEEvPT_PKS6_S9_S9_llllS6_dd
                                        ; -- End function
	.set _ZN2at6native12_GLOBAL__N_131pdist_backward_kernel_cuda_implIfNS1_5distsIfE3twoEEEvPT_PKS6_S9_S9_llllS6_dd.num_vgpr, 23
	.set _ZN2at6native12_GLOBAL__N_131pdist_backward_kernel_cuda_implIfNS1_5distsIfE3twoEEEvPT_PKS6_S9_S9_llllS6_dd.num_agpr, 0
	.set _ZN2at6native12_GLOBAL__N_131pdist_backward_kernel_cuda_implIfNS1_5distsIfE3twoEEEvPT_PKS6_S9_S9_llllS6_dd.numbered_sgpr, 28
	.set _ZN2at6native12_GLOBAL__N_131pdist_backward_kernel_cuda_implIfNS1_5distsIfE3twoEEEvPT_PKS6_S9_S9_llllS6_dd.num_named_barrier, 0
	.set _ZN2at6native12_GLOBAL__N_131pdist_backward_kernel_cuda_implIfNS1_5distsIfE3twoEEEvPT_PKS6_S9_S9_llllS6_dd.private_seg_size, 0
	.set _ZN2at6native12_GLOBAL__N_131pdist_backward_kernel_cuda_implIfNS1_5distsIfE3twoEEEvPT_PKS6_S9_S9_llllS6_dd.uses_vcc, 1
	.set _ZN2at6native12_GLOBAL__N_131pdist_backward_kernel_cuda_implIfNS1_5distsIfE3twoEEEvPT_PKS6_S9_S9_llllS6_dd.uses_flat_scratch, 0
	.set _ZN2at6native12_GLOBAL__N_131pdist_backward_kernel_cuda_implIfNS1_5distsIfE3twoEEEvPT_PKS6_S9_S9_llllS6_dd.has_dyn_sized_stack, 0
	.set _ZN2at6native12_GLOBAL__N_131pdist_backward_kernel_cuda_implIfNS1_5distsIfE3twoEEEvPT_PKS6_S9_S9_llllS6_dd.has_recursion, 0
	.set _ZN2at6native12_GLOBAL__N_131pdist_backward_kernel_cuda_implIfNS1_5distsIfE3twoEEEvPT_PKS6_S9_S9_llllS6_dd.has_indirect_call, 0
	.section	.AMDGPU.csdata,"",@progbits
; Kernel info:
; codeLenInByte = 1140
; TotalNumSgprs: 32
; NumVgprs: 23
; ScratchSize: 0
; MemoryBound: 0
; FloatMode: 240
; IeeeMode: 1
; LDSByteSize: 0 bytes/workgroup (compile time only)
; SGPRBlocks: 3
; VGPRBlocks: 5
; NumSGPRsForWavesPerEU: 32
; NumVGPRsForWavesPerEU: 23
; Occupancy: 10
; WaveLimiterHint : 0
; COMPUTE_PGM_RSRC2:SCRATCH_EN: 0
; COMPUTE_PGM_RSRC2:USER_SGPR: 6
; COMPUTE_PGM_RSRC2:TRAP_HANDLER: 0
; COMPUTE_PGM_RSRC2:TGID_X_EN: 1
; COMPUTE_PGM_RSRC2:TGID_Y_EN: 1
; COMPUTE_PGM_RSRC2:TGID_Z_EN: 0
; COMPUTE_PGM_RSRC2:TIDIG_COMP_CNT: 1
	.section	.text._ZN2at6native12_GLOBAL__N_131pdist_backward_kernel_cuda_implIfNS1_5distsIfE3infEEEvPT_PKS6_S9_S9_llllS6_dd,"axG",@progbits,_ZN2at6native12_GLOBAL__N_131pdist_backward_kernel_cuda_implIfNS1_5distsIfE3infEEEvPT_PKS6_S9_S9_llllS6_dd,comdat
	.globl	_ZN2at6native12_GLOBAL__N_131pdist_backward_kernel_cuda_implIfNS1_5distsIfE3infEEEvPT_PKS6_S9_S9_llllS6_dd ; -- Begin function _ZN2at6native12_GLOBAL__N_131pdist_backward_kernel_cuda_implIfNS1_5distsIfE3infEEEvPT_PKS6_S9_S9_llllS6_dd
	.p2align	8
	.type	_ZN2at6native12_GLOBAL__N_131pdist_backward_kernel_cuda_implIfNS1_5distsIfE3infEEEvPT_PKS6_S9_S9_llllS6_dd,@function
_ZN2at6native12_GLOBAL__N_131pdist_backward_kernel_cuda_implIfNS1_5distsIfE3infEEEvPT_PKS6_S9_S9_llllS6_dd: ; @_ZN2at6native12_GLOBAL__N_131pdist_backward_kernel_cuda_implIfNS1_5distsIfE3infEEEvPT_PKS6_S9_S9_llllS6_dd
; %bb.0:
	s_load_dword s2, s[4:5], 0x64
	s_load_dwordx16 s[8:23], s[4:5], 0x0
	s_add_u32 s0, s4, 0x58
	v_mov_b32_e32 v2, v0
	s_addc_u32 s1, s5, 0
	v_mov_b32_e32 v3, 0
	s_waitcnt lgkmcnt(0)
	s_and_b32 s3, s2, 0xffff
	v_mov_b32_e32 v0, s6
	v_mad_u64_u32 v[2:3], s[24:25], s3, v0, v[2:3]
	v_cmp_gt_i64_e32 vcc, s[22:23], v[2:3]
	s_and_saveexec_b64 s[22:23], vcc
	s_cbranch_execz .LBB29_4
; %bb.1:
	s_lshr_b32 s2, s2, 16
	s_mul_i32 s7, s7, s2
	v_add_u32_e32 v0, s7, v1
	v_ashrrev_i32_e32 v1, 31, v0
	v_cmp_gt_i64_e32 vcc, s[20:21], v[0:1]
	s_and_b64 exec, exec, vcc
	s_cbranch_execz .LBB29_4
; %bb.2:
	v_lshlrev_b64 v[4:5], 1, v[2:3]
	s_load_dwordx4 s[24:27], s[4:5], 0x48
	v_cvt_f64_u32_e32 v[5:6], v5
	v_cvt_f64_u32_e32 v[7:8], v4
	s_mov_b32 s4, 0
	s_brev_b32 s5, 8
	v_ldexp_f64 v[5:6], v[5:6], 32
	s_load_dword s3, s[0:1], 0x4
	s_movk_i32 s0, 0xffe0
	v_mul_lo_u32 v14, v3, s16
	v_mul_lo_u32 v15, v2, s17
	v_mov_b32_e32 v17, s15
	v_mov_b32_e32 v16, s11
	;; [unrolled: 1-line block ×3, first 2 shown]
	v_add_f64 v[4:5], v[5:6], v[7:8]
	v_mov_b32_e32 v6, 0x100
	v_lshlrev_b64 v[0:1], 2, v[0:1]
	s_waitcnt lgkmcnt(0)
	s_mul_i32 s2, s3, s2
	s_ashr_i32 s3, s2, 31
	s_lshl_b64 s[2:3], s[2:3], 2
	v_add_f64 v[4:5], s[26:27], -v[4:5]
	v_cmp_gt_f64_e32 vcc, s[4:5], v[4:5]
	s_mov_b32 s4, 0
	s_mov_b32 s5, 0xc1f00000
	v_cndmask_b32_e32 v6, 0, v6, vcc
	v_ldexp_f64 v[4:5], v[4:5], v6
	v_rsq_f64_e32 v[6:7], v[4:5]
	v_mul_f64 v[8:9], v[4:5], v[6:7]
	v_mul_f64 v[6:7], v[6:7], 0.5
	v_fma_f64 v[10:11], -v[6:7], v[8:9], 0.5
	v_fma_f64 v[8:9], v[8:9], v[10:11], v[8:9]
	v_fma_f64 v[6:7], v[6:7], v[10:11], v[6:7]
	v_fma_f64 v[10:11], -v[8:9], v[8:9], v[4:5]
	v_fma_f64 v[8:9], v[10:11], v[6:7], v[8:9]
	v_fma_f64 v[10:11], -v[8:9], v[8:9], v[4:5]
	v_fma_f64 v[6:7], v[10:11], v[6:7], v[8:9]
	v_mov_b32_e32 v8, 0xffffff80
	v_mov_b32_e32 v9, 0x260
	v_cndmask_b32_e32 v8, 0, v8, vcc
	v_cmp_class_f64_e32 vcc, v[4:5], v9
	v_lshlrev_b64 v[10:11], 2, v[2:3]
	v_ldexp_f64 v[6:7], v[6:7], v8
	v_cndmask_b32_e32 v5, v7, v5, vcc
	v_cndmask_b32_e32 v4, v6, v4, vcc
	v_add_f64 v[4:5], s[24:25], -v[4:5]
	v_trunc_f64_e32 v[4:5], v[4:5]
	v_ldexp_f64 v[6:7], v[4:5], s0
	v_mad_u64_u32 v[8:9], s[0:1], v2, s16, 0
	s_lshl_b64 s[0:1], s[20:21], 2
	v_add3_u32 v9, v9, v15, v14
	v_floor_f64_e32 v[12:13], v[6:7]
	v_add_co_u32_e32 v6, vcc, s14, v10
	v_addc_co_u32_e32 v7, vcc, v17, v11, vcc
	global_load_dword v6, v[6:7], off
	v_lshlrev_b64 v[7:8], 2, v[8:9]
	v_add_co_u32_e32 v7, vcc, s10, v7
	v_addc_co_u32_e32 v8, vcc, v16, v8, vcc
	global_load_dword v7, v[7:8], off
	v_fma_f64 v[4:5], v[12:13], s[4:5], v[4:5]
	v_cvt_i32_f64_e32 v13, v[12:13]
	v_mul_lo_u32 v10, s20, v13
	v_mul_lo_u32 v14, s18, v13
	v_cvt_u32_f64_e32 v12, v[4:5]
	v_mul_lo_u32 v11, s21, v12
	v_mad_u64_u32 v[4:5], s[4:5], s20, v12, 0
	v_mul_lo_u32 v17, s19, v12
	v_mad_u64_u32 v[8:9], s[4:5], s18, v12, 0
	v_add_co_u32_e32 v15, vcc, 1, v12
	v_addc_co_u32_e32 v16, vcc, 0, v13, vcc
	v_mul_lo_u32 v19, v16, v12
	v_add3_u32 v5, v5, v10, v11
	v_mad_u64_u32 v[10:11], s[4:5], v15, v12, 0
	v_add3_u32 v9, v9, v14, v17
	v_mul_lo_u32 v14, v15, v13
	v_sub_co_u32_e32 v8, vcc, v2, v8
	v_subb_co_u32_e32 v9, vcc, v3, v9, vcc
	v_add3_u32 v11, v11, v14, v19
	v_lshrrev_b32_e32 v2, 31, v11
	v_add_co_u32_e32 v2, vcc, v10, v2
	v_addc_co_u32_e32 v3, vcc, 0, v11, vcc
	v_ashrrev_i64 v[2:3], 1, v[2:3]
	v_lshlrev_b64 v[4:5], 2, v[4:5]
	v_add_co_u32_e32 v20, vcc, v2, v8
	v_addc_co_u32_e32 v21, vcc, v3, v9, vcc
	v_add_co_u32_e32 v14, vcc, v15, v20
	v_addc_co_u32_e32 v15, vcc, v16, v21, vcc
	v_mul_lo_u32 v10, v15, s20
	v_mul_lo_u32 v11, v14, s21
	v_mad_u64_u32 v[2:3], s[4:5], v14, s20, 0
	v_add_co_u32_e32 v8, vcc, s12, v4
	v_add3_u32 v3, v3, v11, v10
	v_lshlrev_b64 v[2:3], 2, v[2:3]
	v_addc_co_u32_e32 v9, vcc, v18, v5, vcc
	v_mov_b32_e32 v4, s13
	v_add_co_u32_e32 v10, vcc, s12, v2
	v_addc_co_u32_e32 v11, vcc, v4, v3, vcc
	v_mov_b32_e32 v5, s1
	v_add_co_u32_e32 v2, vcc, s0, v8
	v_addc_co_u32_e32 v3, vcc, v9, v5, vcc
	v_mov_b32_e32 v17, s19
	v_sub_co_u32_e32 v4, vcc, s18, v12
	v_subb_co_u32_e32 v5, vcc, v17, v13, vcc
	v_add_co_u32_e32 v16, vcc, -2, v4
	v_addc_co_u32_e32 v17, vcc, -1, v5, vcc
	v_mad_u64_u32 v[4:5], s[0:1], v20, s18, v[12:13]
	v_mul_lo_u32 v20, v20, s19
	v_mul_lo_u32 v21, v21, s18
	v_mad_u64_u32 v[12:13], s[0:1], v16, s18, v[14:15]
	v_mul_lo_u32 v16, v16, s19
	v_mul_lo_u32 v17, v17, s18
	v_add3_u32 v5, v21, v5, v20
	v_mul_lo_u32 v20, v4, s21
	v_mad_u64_u32 v[14:15], s[0:1], v4, s20, 0
	v_mul_lo_u32 v5, v5, s20
	v_add3_u32 v4, v17, v13, v16
	v_mul_lo_u32 v16, s21, v12
	v_mad_u64_u32 v[12:13], s[0:1], s20, v12, 0
	v_mul_lo_u32 v17, s20, v4
	v_add3_u32 v15, v15, v20, v5
	v_add_co_u32_e32 v4, vcc, v8, v0
	v_lshlrev_b64 v[14:15], 2, v[14:15]
	v_addc_co_u32_e32 v5, vcc, v9, v1, vcc
	v_add3_u32 v13, v13, v17, v16
	v_mov_b32_e32 v19, s9
	v_lshlrev_b64 v[16:17], 2, v[12:13]
	v_add_co_u32_e32 v12, vcc, s8, v14
	v_addc_co_u32_e32 v13, vcc, v19, v15, vcc
	v_mov_b32_e32 v18, s9
	v_add_co_u32_e32 v14, vcc, s8, v16
	v_addc_co_u32_e32 v15, vcc, v18, v17, vcc
	s_mov_b64 s[4:5], 0
.LBB29_3:                               ; =>This Inner Loop Header: Depth=1
	v_add_co_u32_e32 v16, vcc, v10, v0
	v_addc_co_u32_e32 v17, vcc, v11, v1, vcc
	v_add_co_u32_e32 v18, vcc, v8, v0
	v_addc_co_u32_e32 v19, vcc, v9, v1, vcc
	global_load_dword v20, v[18:19], off
	global_load_dword v21, v[16:17], off
	v_add_co_u32_e32 v16, vcc, v12, v0
	v_addc_co_u32_e32 v17, vcc, v13, v1, vcc
	s_waitcnt vmcnt(0)
	v_sub_f32_e32 v18, v20, v21
	v_cmp_lt_f32_e32 vcc, 0, v18
	v_cndmask_b32_e64 v19, 0, 1, vcc
	v_cmp_gt_f32_e32 vcc, 0, v18
	v_subbrev_co_u32_e32 v19, vcc, 0, v19, vcc
	v_cvt_f32_i32_e32 v19, v19
	v_cmp_eq_f32_e64 s[0:1], |v18|, v6
	v_cndmask_b32_e64 v18, 0, 1.0, s[0:1]
	v_add_co_u32_e64 v4, s[0:1], s2, v4
	v_mul_f32_e32 v19, v7, v19
	v_mul_f32_e32 v18, v19, v18
	global_store_dword v[16:17], v18, off
	v_add_co_u32_e32 v16, vcc, v14, v0
	v_addc_co_u32_e32 v17, vcc, v15, v1, vcc
	v_mov_b32_e32 v19, s3
	v_add_co_u32_e32 v0, vcc, s2, v0
	v_addc_co_u32_e64 v5, s[0:1], v5, v19, s[0:1]
	v_addc_co_u32_e32 v1, vcc, v1, v19, vcc
	v_cmp_ge_u64_e32 vcc, v[4:5], v[2:3]
	v_xor_b32_e32 v18, 0x80000000, v18
	s_or_b64 s[4:5], vcc, s[4:5]
	global_store_dword v[16:17], v18, off
	s_andn2_b64 exec, exec, s[4:5]
	s_cbranch_execnz .LBB29_3
.LBB29_4:
	s_endpgm
	.section	.rodata,"a",@progbits
	.p2align	6, 0x0
	.amdhsa_kernel _ZN2at6native12_GLOBAL__N_131pdist_backward_kernel_cuda_implIfNS1_5distsIfE3infEEEvPT_PKS6_S9_S9_llllS6_dd
		.amdhsa_group_segment_fixed_size 0
		.amdhsa_private_segment_fixed_size 0
		.amdhsa_kernarg_size 344
		.amdhsa_user_sgpr_count 6
		.amdhsa_user_sgpr_private_segment_buffer 1
		.amdhsa_user_sgpr_dispatch_ptr 0
		.amdhsa_user_sgpr_queue_ptr 0
		.amdhsa_user_sgpr_kernarg_segment_ptr 1
		.amdhsa_user_sgpr_dispatch_id 0
		.amdhsa_user_sgpr_flat_scratch_init 0
		.amdhsa_user_sgpr_private_segment_size 0
		.amdhsa_uses_dynamic_stack 0
		.amdhsa_system_sgpr_private_segment_wavefront_offset 0
		.amdhsa_system_sgpr_workgroup_id_x 1
		.amdhsa_system_sgpr_workgroup_id_y 1
		.amdhsa_system_sgpr_workgroup_id_z 0
		.amdhsa_system_sgpr_workgroup_info 0
		.amdhsa_system_vgpr_workitem_id 1
		.amdhsa_next_free_vgpr 22
		.amdhsa_next_free_sgpr 28
		.amdhsa_reserve_vcc 1
		.amdhsa_reserve_flat_scratch 0
		.amdhsa_float_round_mode_32 0
		.amdhsa_float_round_mode_16_64 0
		.amdhsa_float_denorm_mode_32 3
		.amdhsa_float_denorm_mode_16_64 3
		.amdhsa_dx10_clamp 1
		.amdhsa_ieee_mode 1
		.amdhsa_fp16_overflow 0
		.amdhsa_exception_fp_ieee_invalid_op 0
		.amdhsa_exception_fp_denorm_src 0
		.amdhsa_exception_fp_ieee_div_zero 0
		.amdhsa_exception_fp_ieee_overflow 0
		.amdhsa_exception_fp_ieee_underflow 0
		.amdhsa_exception_fp_ieee_inexact 0
		.amdhsa_exception_int_div_zero 0
	.end_amdhsa_kernel
	.section	.text._ZN2at6native12_GLOBAL__N_131pdist_backward_kernel_cuda_implIfNS1_5distsIfE3infEEEvPT_PKS6_S9_S9_llllS6_dd,"axG",@progbits,_ZN2at6native12_GLOBAL__N_131pdist_backward_kernel_cuda_implIfNS1_5distsIfE3infEEEvPT_PKS6_S9_S9_llllS6_dd,comdat
.Lfunc_end29:
	.size	_ZN2at6native12_GLOBAL__N_131pdist_backward_kernel_cuda_implIfNS1_5distsIfE3infEEEvPT_PKS6_S9_S9_llllS6_dd, .Lfunc_end29-_ZN2at6native12_GLOBAL__N_131pdist_backward_kernel_cuda_implIfNS1_5distsIfE3infEEEvPT_PKS6_S9_S9_llllS6_dd
                                        ; -- End function
	.set _ZN2at6native12_GLOBAL__N_131pdist_backward_kernel_cuda_implIfNS1_5distsIfE3infEEEvPT_PKS6_S9_S9_llllS6_dd.num_vgpr, 22
	.set _ZN2at6native12_GLOBAL__N_131pdist_backward_kernel_cuda_implIfNS1_5distsIfE3infEEEvPT_PKS6_S9_S9_llllS6_dd.num_agpr, 0
	.set _ZN2at6native12_GLOBAL__N_131pdist_backward_kernel_cuda_implIfNS1_5distsIfE3infEEEvPT_PKS6_S9_S9_llllS6_dd.numbered_sgpr, 28
	.set _ZN2at6native12_GLOBAL__N_131pdist_backward_kernel_cuda_implIfNS1_5distsIfE3infEEEvPT_PKS6_S9_S9_llllS6_dd.num_named_barrier, 0
	.set _ZN2at6native12_GLOBAL__N_131pdist_backward_kernel_cuda_implIfNS1_5distsIfE3infEEEvPT_PKS6_S9_S9_llllS6_dd.private_seg_size, 0
	.set _ZN2at6native12_GLOBAL__N_131pdist_backward_kernel_cuda_implIfNS1_5distsIfE3infEEEvPT_PKS6_S9_S9_llllS6_dd.uses_vcc, 1
	.set _ZN2at6native12_GLOBAL__N_131pdist_backward_kernel_cuda_implIfNS1_5distsIfE3infEEEvPT_PKS6_S9_S9_llllS6_dd.uses_flat_scratch, 0
	.set _ZN2at6native12_GLOBAL__N_131pdist_backward_kernel_cuda_implIfNS1_5distsIfE3infEEEvPT_PKS6_S9_S9_llllS6_dd.has_dyn_sized_stack, 0
	.set _ZN2at6native12_GLOBAL__N_131pdist_backward_kernel_cuda_implIfNS1_5distsIfE3infEEEvPT_PKS6_S9_S9_llllS6_dd.has_recursion, 0
	.set _ZN2at6native12_GLOBAL__N_131pdist_backward_kernel_cuda_implIfNS1_5distsIfE3infEEEvPT_PKS6_S9_S9_llllS6_dd.has_indirect_call, 0
	.section	.AMDGPU.csdata,"",@progbits
; Kernel info:
; codeLenInByte = 1084
; TotalNumSgprs: 32
; NumVgprs: 22
; ScratchSize: 0
; MemoryBound: 0
; FloatMode: 240
; IeeeMode: 1
; LDSByteSize: 0 bytes/workgroup (compile time only)
; SGPRBlocks: 3
; VGPRBlocks: 5
; NumSGPRsForWavesPerEU: 32
; NumVGPRsForWavesPerEU: 22
; Occupancy: 10
; WaveLimiterHint : 0
; COMPUTE_PGM_RSRC2:SCRATCH_EN: 0
; COMPUTE_PGM_RSRC2:USER_SGPR: 6
; COMPUTE_PGM_RSRC2:TRAP_HANDLER: 0
; COMPUTE_PGM_RSRC2:TGID_X_EN: 1
; COMPUTE_PGM_RSRC2:TGID_Y_EN: 1
; COMPUTE_PGM_RSRC2:TGID_Z_EN: 0
; COMPUTE_PGM_RSRC2:TIDIG_COMP_CNT: 1
	.section	.text._ZN2at6native12_GLOBAL__N_131cdist_backward_kernel_cuda_implIdNS1_5distsIdE1pEEEvPT_PKS6_S9_S9_S9_S6_lllllll,"axG",@progbits,_ZN2at6native12_GLOBAL__N_131cdist_backward_kernel_cuda_implIdNS1_5distsIdE1pEEEvPT_PKS6_S9_S9_S9_S6_lllllll,comdat
	.globl	_ZN2at6native12_GLOBAL__N_131cdist_backward_kernel_cuda_implIdNS1_5distsIdE1pEEEvPT_PKS6_S9_S9_S9_S6_lllllll ; -- Begin function _ZN2at6native12_GLOBAL__N_131cdist_backward_kernel_cuda_implIdNS1_5distsIdE1pEEEvPT_PKS6_S9_S9_S9_S6_lllllll
	.p2align	8
	.type	_ZN2at6native12_GLOBAL__N_131cdist_backward_kernel_cuda_implIdNS1_5distsIdE1pEEEvPT_PKS6_S9_S9_S9_S6_lllllll,@function
_ZN2at6native12_GLOBAL__N_131cdist_backward_kernel_cuda_implIdNS1_5distsIdE1pEEEvPT_PKS6_S9_S9_S9_S6_lllllll: ; @_ZN2at6native12_GLOBAL__N_131cdist_backward_kernel_cuda_implIdNS1_5distsIdE1pEEEvPT_PKS6_S9_S9_S9_S6_lllllll
; %bb.0:
	s_load_dwordx2 s[0:1], s[4:5], 0x70
	s_load_dwordx8 s[24:31], s[4:5], 0x40
	s_add_u32 s34, s4, 0x68
	s_addc_u32 s35, s5, 0
	s_waitcnt lgkmcnt(0)
	s_mul_i32 s0, s0, s7
	s_add_i32 s0, s0, s8
	s_lshr_b32 s2, s1, 16
	s_mul_i32 s0, s0, s2
	v_add_u32_e32 v9, s0, v1
	v_ashrrev_i32_e32 v10, 31, v9
	v_cmp_gt_i64_e32 vcc, s[26:27], v[9:10]
	s_and_saveexec_b64 s[2:3], vcc
	s_cbranch_execz .LBB30_14
; %bb.1:
	s_and_b32 s33, s1, 0xffff
	s_load_dwordx2 s[2:3], s[4:5], 0x60
	s_mul_i32 s6, s6, s33
	v_add_u32_e32 v2, s6, v0
	v_ashrrev_i32_e32 v3, 31, v2
	v_cmp_gt_i64_e32 vcc, s[24:25], v[2:3]
	s_and_b64 exec, exec, vcc
	s_cbranch_execz .LBB30_14
; %bb.2:
	v_or_b32_e32 v1, s29, v10
	v_mov_b32_e32 v0, 0
	v_cmp_ne_u64_e32 vcc, 0, v[0:1]
                                        ; implicit-def: $vgpr6_vgpr7
	s_and_saveexec_b64 s[0:1], vcc
	s_xor_b64 s[6:7], exec, s[0:1]
	s_cbranch_execz .LBB30_4
; %bb.3:
	s_ashr_i32 s8, s29, 31
	s_add_u32 s0, s28, s8
	s_mov_b32 s9, s8
	s_addc_u32 s1, s29, s8
	s_xor_b64 s[10:11], s[0:1], s[8:9]
	v_cvt_f32_u32_e32 v0, s10
	v_cvt_f32_u32_e32 v1, s11
	s_sub_u32 s9, 0, s10
	s_subb_u32 s12, 0, s11
	v_ashrrev_i32_e32 v6, 31, v10
	v_madmk_f32 v0, v1, 0x4f800000, v0
	v_rcp_f32_e32 v0, v0
	v_mul_f32_e32 v0, 0x5f7ffffc, v0
	v_mul_f32_e32 v1, 0x2f800000, v0
	v_trunc_f32_e32 v1, v1
	v_madmk_f32 v0, v1, 0xcf800000, v0
	v_cvt_u32_f32_e32 v1, v1
	v_cvt_u32_f32_e32 v0, v0
	v_readfirstlane_b32 s13, v1
	v_readfirstlane_b32 s0, v0
	s_mul_i32 s1, s9, s13
	s_mul_hi_u32 s15, s9, s0
	s_mul_i32 s14, s12, s0
	s_add_i32 s1, s15, s1
	s_add_i32 s1, s1, s14
	s_mul_i32 s16, s9, s0
	s_mul_i32 s15, s0, s1
	s_mul_hi_u32 s17, s0, s16
	s_mul_hi_u32 s14, s0, s1
	s_add_u32 s15, s17, s15
	s_addc_u32 s14, 0, s14
	s_mul_hi_u32 s18, s13, s16
	s_mul_i32 s16, s13, s16
	s_add_u32 s15, s15, s16
	s_mul_hi_u32 s17, s13, s1
	s_addc_u32 s14, s14, s18
	s_addc_u32 s15, s17, 0
	s_mul_i32 s1, s13, s1
	s_add_u32 s1, s14, s1
	s_addc_u32 s14, 0, s15
	s_add_u32 s15, s0, s1
	s_cselect_b64 s[0:1], -1, 0
	s_cmp_lg_u64 s[0:1], 0
	s_addc_u32 s13, s13, s14
	s_mul_i32 s0, s9, s13
	s_mul_hi_u32 s1, s9, s15
	s_add_i32 s0, s1, s0
	s_mul_i32 s12, s12, s15
	s_add_i32 s0, s0, s12
	s_mul_i32 s9, s9, s15
	s_mul_hi_u32 s12, s13, s9
	s_mul_i32 s14, s13, s9
	s_mul_i32 s17, s15, s0
	s_mul_hi_u32 s9, s15, s9
	s_mul_hi_u32 s16, s15, s0
	s_add_u32 s9, s9, s17
	s_addc_u32 s16, 0, s16
	s_add_u32 s9, s9, s14
	s_mul_hi_u32 s1, s13, s0
	s_addc_u32 s9, s16, s12
	s_addc_u32 s1, s1, 0
	s_mul_i32 s0, s13, s0
	s_add_u32 s0, s9, s0
	s_addc_u32 s9, 0, s1
	s_add_u32 s12, s15, s0
	s_cselect_b64 s[0:1], -1, 0
	s_cmp_lg_u64 s[0:1], 0
	v_add_co_u32_e32 v0, vcc, v9, v6
	s_addc_u32 s9, s13, s9
	v_xor_b32_e32 v7, v0, v6
	v_mad_u64_u32 v[0:1], s[0:1], v7, s9, 0
	v_mul_hi_u32 v5, v7, s12
	v_addc_co_u32_e32 v4, vcc, v10, v6, vcc
	v_xor_b32_e32 v8, v4, v6
	v_add_co_u32_e32 v11, vcc, v5, v0
	v_addc_co_u32_e32 v12, vcc, 0, v1, vcc
	v_mad_u64_u32 v[0:1], s[0:1], v8, s12, 0
	v_mad_u64_u32 v[4:5], s[0:1], v8, s9, 0
	v_add_co_u32_e32 v0, vcc, v11, v0
	v_addc_co_u32_e32 v0, vcc, v12, v1, vcc
	v_addc_co_u32_e32 v1, vcc, 0, v5, vcc
	v_add_co_u32_e32 v4, vcc, v0, v4
	v_addc_co_u32_e32 v5, vcc, 0, v1, vcc
	v_mul_lo_u32 v11, s11, v4
	v_mul_lo_u32 v12, s10, v5
	v_mad_u64_u32 v[0:1], s[0:1], s10, v4, 0
	v_add3_u32 v1, v1, v12, v11
	v_sub_u32_e32 v11, v8, v1
	v_mov_b32_e32 v12, s11
	v_sub_co_u32_e32 v0, vcc, v7, v0
	v_subb_co_u32_e64 v7, s[0:1], v11, v12, vcc
	v_subrev_co_u32_e64 v11, s[0:1], s10, v0
	v_subbrev_co_u32_e64 v7, s[0:1], 0, v7, s[0:1]
	v_cmp_le_u32_e64 s[0:1], s11, v7
	v_cndmask_b32_e64 v12, 0, -1, s[0:1]
	v_cmp_le_u32_e64 s[0:1], s10, v11
	v_cndmask_b32_e64 v11, 0, -1, s[0:1]
	v_cmp_eq_u32_e64 s[0:1], s11, v7
	v_cndmask_b32_e64 v7, v12, v11, s[0:1]
	v_add_co_u32_e64 v11, s[0:1], 2, v4
	v_subb_co_u32_e32 v1, vcc, v8, v1, vcc
	v_addc_co_u32_e64 v12, s[0:1], 0, v5, s[0:1]
	v_cmp_le_u32_e32 vcc, s11, v1
	v_add_co_u32_e64 v13, s[0:1], 1, v4
	v_cndmask_b32_e64 v8, 0, -1, vcc
	v_cmp_le_u32_e32 vcc, s10, v0
	v_addc_co_u32_e64 v14, s[0:1], 0, v5, s[0:1]
	v_cndmask_b32_e64 v0, 0, -1, vcc
	v_cmp_eq_u32_e32 vcc, s11, v1
	v_cmp_ne_u32_e64 s[0:1], 0, v7
	v_cndmask_b32_e32 v0, v8, v0, vcc
	v_cmp_ne_u32_e32 vcc, 0, v0
	v_cndmask_b32_e64 v1, v13, v11, s[0:1]
	v_cndmask_b32_e64 v7, v14, v12, s[0:1]
	v_cndmask_b32_e32 v1, v4, v1, vcc
	v_xor_b32_e32 v4, s8, v6
	v_cndmask_b32_e32 v0, v5, v7, vcc
	v_xor_b32_e32 v1, v1, v4
	v_xor_b32_e32 v0, v0, v4
	v_sub_co_u32_e32 v6, vcc, v1, v4
	v_subb_co_u32_e32 v7, vcc, v0, v4, vcc
.LBB30_4:
	s_andn2_saveexec_b64 s[0:1], s[6:7]
	s_cbranch_execz .LBB30_6
; %bb.5:
	v_cvt_f32_u32_e32 v0, s28
	s_sub_i32 s6, 0, s28
	v_mov_b32_e32 v7, 0
	v_rcp_iflag_f32_e32 v0, v0
	v_mul_f32_e32 v0, 0x4f7ffffe, v0
	v_cvt_u32_f32_e32 v0, v0
	v_mul_lo_u32 v1, s6, v0
	v_mul_hi_u32 v1, v0, v1
	v_add_u32_e32 v0, v0, v1
	v_mul_hi_u32 v0, v9, v0
	v_mul_lo_u32 v1, v0, s28
	v_add_u32_e32 v4, 1, v0
	v_sub_u32_e32 v1, v9, v1
	v_subrev_u32_e32 v5, s28, v1
	v_cmp_le_u32_e32 vcc, s28, v1
	v_cndmask_b32_e32 v1, v1, v5, vcc
	v_cndmask_b32_e32 v0, v0, v4, vcc
	v_add_u32_e32 v4, 1, v0
	v_cmp_le_u32_e32 vcc, s28, v1
	v_cndmask_b32_e32 v6, v0, v4, vcc
.LBB30_6:
	s_or_b64 exec, exec, s[0:1]
	v_mul_lo_u32 v0, v7, s28
	v_mul_lo_u32 v1, v6, s29
	v_mad_u64_u32 v[4:5], s[0:1], v6, s28, 0
	s_load_dwordx16 s[8:23], s[4:5], 0x0
                                        ; implicit-def: $vgpr7_vgpr8
	v_add3_u32 v0, v5, v1, v0
	v_sub_co_u32_e32 v38, vcc, v9, v4
	v_subb_co_u32_e32 v39, vcc, v10, v0, vcc
	s_waitcnt lgkmcnt(0)
	v_or_b32_e32 v1, s23, v39
	v_mov_b32_e32 v0, 0
	v_cmp_ne_u64_e32 vcc, 0, v[0:1]
	s_and_saveexec_b64 s[0:1], vcc
	s_xor_b64 s[4:5], exec, s[0:1]
	s_cbranch_execz .LBB30_8
; %bb.7:
	s_ashr_i32 s6, s23, 31
	s_add_u32 s0, s22, s6
	s_mov_b32 s7, s6
	s_addc_u32 s1, s23, s6
	s_xor_b64 s[26:27], s[0:1], s[6:7]
	v_cvt_f32_u32_e32 v0, s26
	v_cvt_f32_u32_e32 v1, s27
	s_sub_u32 s7, 0, s26
	s_subb_u32 s28, 0, s27
	v_ashrrev_i32_e32 v5, 31, v39
	v_madmk_f32 v0, v1, 0x4f800000, v0
	v_rcp_f32_e32 v0, v0
	v_mul_f32_e32 v0, 0x5f7ffffc, v0
	v_mul_f32_e32 v1, 0x2f800000, v0
	v_trunc_f32_e32 v1, v1
	v_madmk_f32 v0, v1, 0xcf800000, v0
	v_cvt_u32_f32_e32 v1, v1
	v_cvt_u32_f32_e32 v0, v0
	v_readfirstlane_b32 s29, v1
	v_readfirstlane_b32 s0, v0
	s_mul_i32 s1, s7, s29
	s_mul_hi_u32 s37, s7, s0
	s_mul_i32 s36, s28, s0
	s_add_i32 s1, s37, s1
	s_add_i32 s1, s1, s36
	s_mul_i32 s38, s7, s0
	s_mul_i32 s37, s0, s1
	s_mul_hi_u32 s39, s0, s38
	s_mul_hi_u32 s36, s0, s1
	s_add_u32 s37, s39, s37
	s_addc_u32 s36, 0, s36
	s_mul_hi_u32 s40, s29, s38
	s_mul_i32 s38, s29, s38
	s_add_u32 s37, s37, s38
	s_mul_hi_u32 s39, s29, s1
	s_addc_u32 s36, s36, s40
	s_addc_u32 s37, s39, 0
	s_mul_i32 s1, s29, s1
	s_add_u32 s1, s36, s1
	s_addc_u32 s36, 0, s37
	s_add_u32 s37, s0, s1
	s_cselect_b64 s[0:1], -1, 0
	s_cmp_lg_u64 s[0:1], 0
	s_addc_u32 s29, s29, s36
	s_mul_i32 s0, s7, s29
	s_mul_hi_u32 s1, s7, s37
	s_add_i32 s0, s1, s0
	s_mul_i32 s28, s28, s37
	s_add_i32 s0, s0, s28
	s_mul_i32 s7, s7, s37
	s_mul_hi_u32 s28, s29, s7
	s_mul_i32 s36, s29, s7
	s_mul_i32 s39, s37, s0
	s_mul_hi_u32 s7, s37, s7
	s_mul_hi_u32 s38, s37, s0
	s_add_u32 s7, s7, s39
	s_addc_u32 s38, 0, s38
	s_add_u32 s7, s7, s36
	s_mul_hi_u32 s1, s29, s0
	s_addc_u32 s7, s38, s28
	s_addc_u32 s1, s1, 0
	s_mul_i32 s0, s29, s0
	s_add_u32 s0, s7, s0
	s_addc_u32 s7, 0, s1
	s_add_u32 s28, s37, s0
	s_cselect_b64 s[0:1], -1, 0
	s_cmp_lg_u64 s[0:1], 0
	v_add_co_u32_e32 v0, vcc, v38, v5
	s_addc_u32 s7, s29, s7
	v_xor_b32_e32 v11, v0, v5
	v_mad_u64_u32 v[0:1], s[0:1], v11, s7, 0
	v_mul_hi_u32 v8, v11, s28
	v_addc_co_u32_e32 v7, vcc, v39, v5, vcc
	v_xor_b32_e32 v12, v7, v5
	v_add_co_u32_e32 v13, vcc, v8, v0
	v_addc_co_u32_e32 v14, vcc, 0, v1, vcc
	v_mad_u64_u32 v[0:1], s[0:1], v12, s28, 0
	v_mad_u64_u32 v[7:8], s[0:1], v12, s7, 0
	v_add_co_u32_e32 v0, vcc, v13, v0
	v_addc_co_u32_e32 v0, vcc, v14, v1, vcc
	v_addc_co_u32_e32 v1, vcc, 0, v8, vcc
	v_add_co_u32_e32 v7, vcc, v0, v7
	v_addc_co_u32_e32 v8, vcc, 0, v1, vcc
	v_mul_lo_u32 v13, s27, v7
	v_mul_lo_u32 v14, s26, v8
	v_mad_u64_u32 v[0:1], s[0:1], s26, v7, 0
	v_xor_b32_e32 v5, s6, v5
	v_add3_u32 v1, v1, v14, v13
	v_sub_u32_e32 v13, v12, v1
	v_mov_b32_e32 v14, s27
	v_sub_co_u32_e32 v0, vcc, v11, v0
	v_subb_co_u32_e64 v11, s[0:1], v13, v14, vcc
	v_subrev_co_u32_e64 v13, s[0:1], s26, v0
	v_subbrev_co_u32_e64 v11, s[0:1], 0, v11, s[0:1]
	v_cmp_le_u32_e64 s[0:1], s27, v11
	v_cndmask_b32_e64 v14, 0, -1, s[0:1]
	v_cmp_le_u32_e64 s[0:1], s26, v13
	v_cndmask_b32_e64 v13, 0, -1, s[0:1]
	v_cmp_eq_u32_e64 s[0:1], s27, v11
	v_cndmask_b32_e64 v11, v14, v13, s[0:1]
	v_add_co_u32_e64 v13, s[0:1], 2, v7
	v_subb_co_u32_e32 v1, vcc, v12, v1, vcc
	v_addc_co_u32_e64 v14, s[0:1], 0, v8, s[0:1]
	v_cmp_le_u32_e32 vcc, s27, v1
	v_add_co_u32_e64 v15, s[0:1], 1, v7
	v_cndmask_b32_e64 v12, 0, -1, vcc
	v_cmp_le_u32_e32 vcc, s26, v0
	v_addc_co_u32_e64 v16, s[0:1], 0, v8, s[0:1]
	v_cndmask_b32_e64 v0, 0, -1, vcc
	v_cmp_eq_u32_e32 vcc, s27, v1
	v_cmp_ne_u32_e64 s[0:1], 0, v11
	v_cndmask_b32_e32 v0, v12, v0, vcc
	v_cmp_ne_u32_e32 vcc, 0, v0
	v_cndmask_b32_e64 v1, v15, v13, s[0:1]
	v_cndmask_b32_e64 v11, v16, v14, s[0:1]
	v_cndmask_b32_e32 v1, v7, v1, vcc
	v_cndmask_b32_e32 v0, v8, v11, vcc
	v_xor_b32_e32 v1, v1, v5
	v_xor_b32_e32 v0, v0, v5
	v_sub_co_u32_e32 v7, vcc, v1, v5
	v_subb_co_u32_e32 v8, vcc, v0, v5, vcc
.LBB30_8:
	s_or_saveexec_b64 s[0:1], s[4:5]
	s_load_dword s4, s[34:35], 0x0
	s_xor_b64 exec, exec, s[0:1]
	s_cbranch_execz .LBB30_10
; %bb.9:
	v_cvt_f32_u32_e32 v0, s22
	s_sub_i32 s5, 0, s22
	v_mov_b32_e32 v8, 0
	v_rcp_iflag_f32_e32 v0, v0
	v_mul_f32_e32 v0, 0x4f7ffffe, v0
	v_cvt_u32_f32_e32 v0, v0
	v_mul_lo_u32 v1, s5, v0
	v_mul_hi_u32 v1, v0, v1
	v_add_u32_e32 v0, v0, v1
	v_mul_hi_u32 v0, v38, v0
	v_mul_lo_u32 v1, v0, s22
	v_add_u32_e32 v5, 1, v0
	v_sub_u32_e32 v1, v38, v1
	v_subrev_u32_e32 v7, s22, v1
	v_cmp_le_u32_e32 vcc, s22, v1
	v_cndmask_b32_e32 v1, v1, v7, vcc
	v_cndmask_b32_e32 v0, v0, v5, vcc
	v_add_u32_e32 v5, 1, v0
	v_cmp_le_u32_e32 vcc, s22, v1
	v_cndmask_b32_e32 v7, v0, v5, vcc
.LBB30_10:
	s_or_b64 exec, exec, s[0:1]
	v_lshlrev_b64 v[13:14], 3, v[9:10]
	v_mov_b32_e32 v1, s17
	v_add_co_u32_e32 v0, vcc, s16, v13
	v_addc_co_u32_e32 v1, vcc, v1, v14, vcc
	global_load_dwordx2 v[11:12], v[0:1], off
	v_add_f64 v[0:1], s[18:19], -1.0
	v_mov_b32_e32 v37, 0x3ff00000
	s_mov_b32 s16, 0x55555555
	s_mov_b32 s17, 0x3fe55555
	;; [unrolled: 1-line block ×26, first 2 shown]
	s_movk_i32 s82, 0x204
	s_mov_b32 s54, 0x652b82fe
	s_mov_b32 s55, 0x3ff71547
	v_mul_lo_u32 v44, v8, s22
	v_mul_lo_u32 v45, v7, s23
	s_mov_b32 s23, 0xbfe62e42
	s_mov_b32 s57, 0xbc7abc9e
	;; [unrolled: 1-line block ×4, first 2 shown]
	v_ashrrev_i32_e32 v42, 31, v6
	v_mul_lo_u32 v41, v6, s31
	v_mul_lo_u32 v43, v6, s3
	s_mov_b32 s59, 0x3e5ade15
	s_mov_b32 s60, 0x623fde64
	;; [unrolled: 1-line block ×11, first 2 shown]
	v_mov_b32_e32 v49, s11
	v_mul_lo_u32 v58, v42, s30
	v_mul_lo_u32 v42, v42, s2
	s_mov_b32 s70, 0x555502a1
	s_mov_b32 s71, 0x3fa55555
	;; [unrolled: 1-line block ×6, first 2 shown]
	v_mul_lo_u32 v53, s24, v4
	v_mov_b32_e32 v52, 0
	v_mov_b32_e32 v48, s9
	;; [unrolled: 1-line block ×3, first 2 shown]
	v_mul_lo_u32 v56, v8, s24
	v_mul_lo_u32 v57, v7, s25
	v_mad_u64_u32 v[54:55], s[0:1], v7, s24, 0
	v_mov_b32_e32 v47, s15
	s_mov_b32 s76, 0
	v_add3_u32 v55, v55, v57, v56
	s_mov_b32 s78, 0
	s_mov_b32 s77, 0x40900000
	;; [unrolled: 1-line block ×3, first 2 shown]
	v_mov_b32_e32 v4, 0x7ff00000
	v_lshlrev_b64 v[2:3], 3, v[2:3]
	s_waitcnt lgkmcnt(0)
	s_mul_i32 s80, s4, s33
	s_brev_b32 s13, -2
	v_mov_b32_e32 v40, 0x7ff80000
	s_waitcnt vmcnt(0)
	v_cmp_neq_f64_e32 vcc, 1.0, v[11:12]
	s_ashr_i32 s81, s80, 31
	v_cndmask_b32_e32 v16, v37, v1, vcc
	v_cndmask_b32_e32 v15, 0, v0, vcc
	v_cmp_neq_f64_e32 vcc, 0, v[15:16]
	v_cndmask_b32_e32 v18, v37, v12, vcc
	v_cndmask_b32_e32 v17, 0, v11, vcc
	v_frexp_mant_f64_e64 v[0:1], |v[17:18]|
	v_cmp_gt_f64_e32 vcc, s[16:17], v[0:1]
	v_cndmask_b32_e64 v5, 0, 1, vcc
	v_ldexp_f64 v[0:1], v[0:1], v5
	v_frexp_exp_i32_f64_e32 v5, v[17:18]
	v_add_f64 v[9:10], v[0:1], 1.0
	v_add_f64 v[23:24], v[0:1], -1.0
	v_subbrev_co_u32_e32 v5, vcc, 0, v5, vcc
	v_rcp_f64_e32 v[19:20], v[9:10]
	v_add_f64 v[25:26], v[9:10], -1.0
	v_add_f64 v[0:1], v[0:1], -v[25:26]
	v_fma_f64 v[21:22], -v[9:10], v[19:20], 1.0
	v_fma_f64 v[19:20], v[21:22], v[19:20], v[19:20]
	v_fma_f64 v[21:22], -v[9:10], v[19:20], 1.0
	v_fma_f64 v[19:20], v[21:22], v[19:20], v[19:20]
	v_mul_f64 v[21:22], v[23:24], v[19:20]
	v_mul_f64 v[27:28], v[9:10], v[21:22]
	v_fma_f64 v[9:10], v[21:22], v[9:10], -v[27:28]
	v_fma_f64 v[0:1], v[21:22], v[0:1], v[9:10]
	v_add_f64 v[9:10], v[27:28], v[0:1]
	v_add_f64 v[25:26], v[23:24], -v[9:10]
	v_add_f64 v[27:28], v[9:10], -v[27:28]
	;; [unrolled: 1-line block ×5, first 2 shown]
	v_add_f64 v[0:1], v[0:1], v[9:10]
	v_add_f64 v[0:1], v[25:26], v[0:1]
	v_mul_f64 v[0:1], v[19:20], v[0:1]
	v_add_f64 v[19:20], v[21:22], v[0:1]
	v_add_f64 v[9:10], v[19:20], -v[21:22]
	v_mul_f64 v[21:22], v[19:20], v[19:20]
	v_add_f64 v[9:10], v[0:1], -v[9:10]
	v_fma_f64 v[0:1], v[19:20], v[19:20], -v[21:22]
	v_add_f64 v[23:24], v[9:10], v[9:10]
	v_fma_f64 v[23:24], v[19:20], v[23:24], v[0:1]
	v_mov_b32_e32 v0, 0x968915a9
	v_mov_b32_e32 v1, 0x3fba6564
	v_add_f64 v[25:26], v[21:22], v[23:24]
	v_fma_f64 v[27:28], v[25:26], s[26:27], v[0:1]
	v_add_f64 v[21:22], v[25:26], -v[21:22]
	v_mul_f64 v[33:34], v[19:20], v[25:26]
	v_fma_f64 v[27:28], v[25:26], v[27:28], s[28:29]
	v_add_f64 v[21:22], v[23:24], -v[21:22]
	v_fma_f64 v[27:28], v[25:26], v[27:28], s[34:35]
	v_fma_f64 v[27:28], v[25:26], v[27:28], s[36:37]
	;; [unrolled: 1-line block ×6, first 2 shown]
	v_mul_f64 v[29:30], v[25:26], v[27:28]
	v_fma_f64 v[23:24], v[25:26], v[27:28], -v[29:30]
	v_fma_f64 v[23:24], v[21:22], v[27:28], v[23:24]
	v_add_f64 v[27:28], v[29:30], v[23:24]
	v_add_f64 v[31:32], v[27:28], s[16:17]
	v_add_f64 v[29:30], v[27:28], -v[29:30]
	v_add_f64 v[35:36], v[31:32], s[46:47]
	v_add_f64 v[23:24], v[23:24], -v[29:30]
	v_fma_f64 v[29:30], v[25:26], v[19:20], -v[33:34]
	v_add_f64 v[27:28], v[27:28], -v[35:36]
	v_add_f64 v[23:24], v[23:24], s[48:49]
	v_fma_f64 v[25:26], v[25:26], v[9:10], v[29:30]
	v_ldexp_f64 v[9:10], v[9:10], 1
	v_add_f64 v[23:24], v[23:24], v[27:28]
	v_fma_f64 v[25:26], v[21:22], v[19:20], v[25:26]
	v_ldexp_f64 v[19:20], v[19:20], 1
	v_add_f64 v[27:28], v[31:32], v[23:24]
	v_add_f64 v[29:30], v[33:34], v[25:26]
	v_add_f64 v[31:32], v[31:32], -v[27:28]
	v_mul_f64 v[21:22], v[29:30], v[27:28]
	v_add_f64 v[33:34], v[29:30], -v[33:34]
	v_add_f64 v[23:24], v[23:24], v[31:32]
	v_fma_f64 v[31:32], v[29:30], v[27:28], -v[21:22]
	v_add_f64 v[25:26], v[25:26], -v[33:34]
	v_fma_f64 v[23:24], v[29:30], v[23:24], v[31:32]
	v_cvt_f64_i32_e32 v[29:30], v5
	v_mov_b32_e32 v5, 0xfca7ab0c
	v_mul_f64 v[31:32], v[29:30], s[50:51]
	v_fma_f64 v[23:24], v[25:26], v[27:28], v[23:24]
	v_add_f64 v[25:26], v[21:22], v[23:24]
	v_add_f64 v[27:28], v[19:20], v[25:26]
	v_add_f64 v[21:22], v[25:26], -v[21:22]
	v_add_f64 v[19:20], v[27:28], -v[19:20]
	;; [unrolled: 1-line block ×3, first 2 shown]
	v_fma_f64 v[23:24], v[29:30], s[50:51], -v[31:32]
	v_add_f64 v[19:20], v[25:26], -v[19:20]
	v_add_f64 v[9:10], v[9:10], v[21:22]
	v_fma_f64 v[21:22], v[29:30], s[52:53], v[23:24]
	v_add_f64 v[9:10], v[9:10], v[19:20]
	v_add_f64 v[19:20], v[31:32], v[21:22]
	;; [unrolled: 1-line block ×3, first 2 shown]
	v_add_f64 v[31:32], v[19:20], -v[31:32]
	v_add_f64 v[25:26], v[19:20], v[23:24]
	v_add_f64 v[27:28], v[23:24], -v[27:28]
	v_add_f64 v[21:22], v[21:22], -v[31:32]
	v_mad_u64_u32 v[31:32], s[0:1], v6, s2, 0
	v_add3_u32 v32, v32, v43, v42
	v_add_f64 v[29:30], v[25:26], -v[19:20]
	v_add_f64 v[9:10], v[9:10], -v[27:28]
	v_lshlrev_b64 v[31:32], 3, v[31:32]
	v_add_f64 v[33:34], v[25:26], -v[29:30]
	v_add_f64 v[23:24], v[23:24], -v[29:30]
	v_add_f64 v[27:28], v[21:22], v[9:10]
	v_add_f64 v[19:20], v[19:20], -v[33:34]
	v_mad_u64_u32 v[33:34], s[0:1], v7, s22, 0
	s_mov_b32 s22, s50
	v_add3_u32 v34, v34, v45, v44
	v_ashrrev_i64 v[44:45], 29, v[52:53]
	v_add_f64 v[19:20], v[23:24], v[19:20]
	v_add_f64 v[23:24], v[27:28], -v[21:22]
	v_add_f64 v[19:20], v[27:28], v[19:20]
	v_add_f64 v[27:28], v[27:28], -v[23:24]
	v_add_f64 v[9:10], v[9:10], -v[23:24]
	v_add_f64 v[29:30], v[25:26], v[19:20]
	v_add_f64 v[21:22], v[21:22], -v[27:28]
	;; [unrolled: 3-line block ×3, first 2 shown]
	v_add_f64 v[9:10], v[9:10], v[19:20]
	v_add_f64 v[19:20], v[29:30], v[9:10]
	v_add_f64 v[23:24], v[19:20], -v[29:30]
	v_mul_f64 v[21:22], v[15:16], v[19:20]
	v_mad_u64_u32 v[29:30], s[0:1], v6, s30, 0
	v_mov_b32_e32 v6, 0x3e928af3
	s_lshl_b64 s[0:1], s[24:25], 3
	v_add3_u32 v30, v30, v41, v58
	v_lshlrev_b64 v[29:30], 3, v[29:30]
	v_add_f64 v[9:10], v[9:10], -v[23:24]
	v_fma_f64 v[19:20], v[15:16], v[19:20], -v[21:22]
	v_cmp_class_f64_e64 vcc, v[21:22], s82
	v_mov_b32_e32 v59, s1
	v_fma_f64 v[19:20], v[15:16], v[9:10], v[19:20]
	v_add_f64 v[23:24], v[21:22], v[19:20]
	v_cndmask_b32_e32 v26, v24, v22, vcc
	v_cndmask_b32_e32 v25, v23, v21, vcc
	v_mul_f64 v[9:10], v[25:26], s[54:55]
	v_add_co_u32_e32 v13, vcc, s10, v13
	v_addc_co_u32_e32 v14, vcc, v49, v14, vcc
	global_load_dwordx2 v[13:14], v[13:14], off
	v_sub_co_u32_e32 v43, vcc, v38, v33
	v_rndne_f64_e32 v[27:28], v[9:10]
	v_mad_u64_u32 v[7:8], s[2:3], v43, s20, v[7:8]
	v_add_f64 v[21:22], v[23:24], -v[21:22]
	s_mov_b64 s[10:11], 0
	v_fma_f64 v[9:10], v[27:28], s[22:23], v[25:26]
	v_add_f64 v[21:22], v[19:20], -v[21:22]
	v_fma_f64 v[35:36], v[27:28], s[56:57], v[9:10]
	v_fma_f64 v[9:10], v[35:36], s[58:59], v[5:6]
	;; [unrolled: 1-line block ×3, first 2 shown]
	v_add_f64 v[9:10], s[18:19], -2.0
	s_mov_b32 s18, 0
	s_mov_b32 s19, 0x7ff00000
	v_fma_f64 v[50:51], v[35:36], v[50:51], s[62:63]
	v_fma_f64 v[50:51], v[35:36], v[50:51], s[64:65]
	;; [unrolled: 1-line block ×4, first 2 shown]
	v_mul_lo_u32 v51, v43, s25
	v_fma_f64 v[41:42], v[35:36], v[49:50], s[70:71]
	v_subb_co_u32_e32 v49, vcc, v39, v34, vcc
	v_add_co_u32_e32 v44, vcc, s8, v44
	v_addc_co_u32_e32 v45, vcc, v48, v45, vcc
	v_add_co_u32_e32 v29, vcc, s12, v29
	v_fma_f64 v[33:34], v[35:36], v[41:42], s[72:73]
	v_addc_co_u32_e32 v30, vcc, v46, v30, vcc
	v_add_co_u32_e32 v46, vcc, s14, v31
	v_addc_co_u32_e32 v47, vcc, v47, v32, vcc
	v_lshlrev_b64 v[38:39], 3, v[54:55]
	v_fma_f64 v[33:34], v[35:36], v[33:34], s[74:75]
	v_add_co_u32_e32 v29, vcc, v29, v38
	v_mul_lo_u32 v38, v7, s25
	v_mul_lo_u32 v50, v43, s21
	v_mad_u64_u32 v[41:42], s[2:3], v43, s24, 0
	v_mul_lo_u32 v43, v49, s20
	v_fma_f64 v[33:34], v[35:36], v[33:34], 1.0
	v_addc_co_u32_e32 v30, vcc, v30, v39, vcc
	v_add3_u32 v39, v43, v8, v50
	v_add_co_u32_e64 v19, s[4:5], v29, v2
	v_addc_co_u32_e64 v20, s[4:5], v30, v3, s[4:5]
	v_fma_f64 v[31:32], v[35:36], v[33:34], 1.0
	v_mad_u64_u32 v[33:34], s[2:3], v7, s24, 0
	v_cvt_i32_f64_e32 v7, v[27:28]
	v_mul_f64 v[27:28], v[15:16], 0.5
	v_cmp_ngt_f64_e64 s[2:3], s[78:79], v[25:26]
	v_cmp_lt_f64_e64 s[8:9], |v[17:18]|, 1.0
	v_mul_lo_u32 v48, v49, s24
	v_ldexp_f64 v[23:24], v[31:32], v7
	v_add_co_u32_e32 v7, vcc, s0, v29
	v_addc_co_u32_e32 v8, vcc, v30, v59, vcc
	v_cmp_neq_f64_e64 vcc, |v[25:26]|, s[18:19]
	v_cmp_nlt_f64_e64 s[0:1], s[76:77], v[25:26]
	v_trunc_f64_e32 v[31:32], v[15:16]
	v_trunc_f64_e32 v[35:36], v[27:28]
	v_add3_u32 v42, v42, v51, v48
	v_mul_lo_u32 v25, v39, s24
	v_cndmask_b32_e32 v22, 0, v22, vcc
	v_cndmask_b32_e64 v24, v4, v24, s[0:1]
	v_cndmask_b32_e32 v21, 0, v21, vcc
	s_and_b64 vcc, s[2:3], s[0:1]
	v_cndmask_b32_e64 v24, 0, v24, s[2:3]
	v_cndmask_b32_e32 v23, 0, v23, vcc
	v_fma_f64 v[21:22], v[23:24], v[21:22], v[23:24]
	v_cmp_class_f64_e64 vcc, v[23:24], s82
	v_cmp_eq_f64_e64 s[4:5], v[31:32], v[15:16]
	v_cmp_neq_f64_e64 s[6:7], v[35:36], v[27:28]
	v_cmp_gt_f64_e64 s[0:1], 0, v[15:16]
	v_cmp_neq_f64_e64 s[2:3], v[15:16], |v[15:16]|
	v_add3_u32 v34, v34, v38, v25
	v_cndmask_b32_e32 v21, v21, v23, vcc
	v_cndmask_b32_e32 v22, v22, v24, vcc
	v_cmp_gt_f64_e32 vcc, 0, v[17:18]
	v_cndmask_b32_e64 v26, v4, 0, s[0:1]
	s_and_b64 s[0:1], s[4:5], s[6:7]
	v_cndmask_b32_e64 v27, v37, v18, s[0:1]
	v_bfi_b32 v22, s13, v22, v27
	s_xor_b64 s[2:3], s[2:3], s[8:9]
	v_cndmask_b32_e64 v23, v40, v22, s[4:5]
	v_cndmask_b32_e64 v24, 0, v21, s[4:5]
	;; [unrolled: 1-line block ×3, first 2 shown]
	v_cmp_neq_f64_e64 s[2:3], |v[17:18]|, 1.0
	v_cndmask_b32_e32 v24, v21, v24, vcc
	v_cndmask_b32_e32 v21, v22, v23, vcc
	v_cmp_class_f64_e64 vcc, v[15:16], s82
	v_cndmask_b32_e64 v28, 0, v18, s[0:1]
	v_cmp_class_f64_e64 s[0:1], v[17:18], s82
	v_bfi_b32 v26, s13, v26, v28
	s_lshl_b64 s[8:9], s[80:81], 3
	v_cndmask_b32_e64 v27, v37, v27, s[2:3]
	v_cndmask_b32_e32 v23, v21, v27, vcc
	v_lshlrev_b64 v[21:22], 3, v[41:42]
	v_add_co_u32_e64 v27, s[2:3], v46, v21
	v_cndmask_b32_e64 v21, v23, v26, s[0:1]
	s_or_b64 s[0:1], s[0:1], vcc
	v_cmp_o_f64_e32 vcc, v[17:18], v[15:16]
	v_addc_co_u32_e64 v28, s[2:3], v47, v22, s[2:3]
	v_cndmask_b32_e64 v22, v24, 0, s[0:1]
	v_cmp_neq_f64_e64 s[0:1], 0, v[11:12]
	v_lshlrev_b64 v[15:16], 3, v[33:34]
	v_add_co_u32_e64 v31, s[2:3], v44, v15
	v_addc_co_u32_e64 v32, s[2:3], v45, v16, s[2:3]
	v_cndmask_b32_e32 v11, 0, v22, vcc
	v_cndmask_b32_e32 v12, v40, v21, vcc
	s_branch .LBB30_12
.LBB30_11:                              ;   in Loop: Header=BB30_12 Depth=1
	s_or_b64 exec, exec, s[12:13]
	v_add_co_u32_e32 v17, vcc, v31, v2
	v_addc_co_u32_e32 v18, vcc, v32, v3, vcc
	v_mov_b32_e32 v21, s9
	v_add_co_u32_e32 v19, vcc, s8, v19
	v_addc_co_u32_e32 v20, vcc, v20, v21, vcc
	v_cmp_ge_u64_e32 vcc, v[19:20], v[7:8]
	global_store_dwordx2 v[17:18], v[15:16], off
	s_or_b64 s[10:11], vcc, s[10:11]
	v_add_co_u32_e32 v2, vcc, s8, v2
	v_addc_co_u32_e32 v3, vcc, v3, v21, vcc
	s_andn2_b64 exec, exec, s[10:11]
	s_cbranch_execz .LBB30_14
.LBB30_12:                              ; =>This Inner Loop Header: Depth=1
	v_mov_b32_e32 v15, 0
	v_mov_b32_e32 v16, 0
	s_and_saveexec_b64 s[12:13], s[0:1]
	s_cbranch_execz .LBB30_11
; %bb.13:                               ;   in Loop: Header=BB30_12 Depth=1
	v_add_co_u32_e32 v15, vcc, v27, v2
	v_addc_co_u32_e32 v16, vcc, v28, v3, vcc
	v_add_co_u32_e32 v17, vcc, v29, v2
	v_addc_co_u32_e32 v18, vcc, v30, v3, vcc
	global_load_dwordx2 v[17:18], v[17:18], off
	s_nop 0
	global_load_dwordx2 v[15:16], v[15:16], off
	s_mov_b32 s46, s16
	s_mov_b32 s22, s50
	;; [unrolled: 1-line block ×3, first 2 shown]
	s_waitcnt vmcnt(0)
	v_add_f64 v[15:16], v[17:18], -v[15:16]
	v_cmp_neq_f64_e64 vcc, |v[15:16]|, 1.0
	v_cndmask_b32_e32 v18, v37, v10, vcc
	v_cndmask_b32_e32 v17, 0, v9, vcc
	v_cmp_neq_f64_e32 vcc, 0, v[17:18]
	v_cmp_neq_f64_e64 s[14:15], v[17:18], |v[17:18]|
	v_cmp_gt_f64_e64 s[6:7], 0, v[17:18]
	v_cndmask_b32_e32 v22, v37, v16, vcc
	v_cndmask_b32_e32 v21, 0, v15, vcc
	v_frexp_mant_f64_e64 v[23:24], |v[21:22]|
	v_cmp_lt_f64_e64 s[20:21], |v[21:22]|, 1.0
	v_cmp_eq_f64_e64 s[24:25], |v[21:22]|, 0
	v_cmp_gt_f64_e32 vcc, s[16:17], v[23:24]
	s_xor_b64 s[6:7], s[6:7], s[24:25]
	v_cndmask_b32_e64 v25, 0, 1, vcc
	v_ldexp_f64 v[23:24], v[23:24], v25
	v_add_f64 v[25:26], v[23:24], 1.0
	v_add_f64 v[38:39], v[23:24], -1.0
	v_rcp_f64_e32 v[33:34], v[25:26]
	v_add_f64 v[41:42], v[25:26], -1.0
	v_add_f64 v[23:24], v[23:24], -v[41:42]
	v_fma_f64 v[35:36], -v[25:26], v[33:34], 1.0
	v_fma_f64 v[33:34], v[35:36], v[33:34], v[33:34]
	v_fma_f64 v[35:36], -v[25:26], v[33:34], 1.0
	v_fma_f64 v[33:34], v[35:36], v[33:34], v[33:34]
	v_mul_f64 v[35:36], v[38:39], v[33:34]
	v_mul_f64 v[43:44], v[25:26], v[35:36]
	v_fma_f64 v[25:26], v[35:36], v[25:26], -v[43:44]
	v_fma_f64 v[23:24], v[35:36], v[23:24], v[25:26]
	v_add_f64 v[25:26], v[43:44], v[23:24]
	v_add_f64 v[41:42], v[38:39], -v[25:26]
	v_add_f64 v[43:44], v[25:26], -v[43:44]
	;; [unrolled: 1-line block ×5, first 2 shown]
	v_add_f64 v[23:24], v[23:24], v[25:26]
	v_add_f64 v[23:24], v[41:42], v[23:24]
	v_mul_f64 v[23:24], v[33:34], v[23:24]
	v_add_f64 v[25:26], v[35:36], v[23:24]
	v_add_f64 v[33:34], v[25:26], -v[35:36]
	v_mul_f64 v[35:36], v[25:26], v[25:26]
	v_add_f64 v[23:24], v[23:24], -v[33:34]
	v_fma_f64 v[33:34], v[25:26], v[25:26], -v[35:36]
	v_add_f64 v[38:39], v[23:24], v[23:24]
	v_fma_f64 v[33:34], v[25:26], v[38:39], v[33:34]
	v_add_f64 v[38:39], v[35:36], v[33:34]
	v_fma_f64 v[41:42], v[38:39], s[26:27], v[0:1]
	v_add_f64 v[35:36], v[38:39], -v[35:36]
	v_mul_f64 v[47:48], v[25:26], v[38:39]
	v_fma_f64 v[41:42], v[38:39], v[41:42], s[28:29]
	v_add_f64 v[33:34], v[33:34], -v[35:36]
	v_fma_f64 v[41:42], v[38:39], v[41:42], s[34:35]
	v_fma_f64 v[41:42], v[38:39], v[41:42], s[36:37]
	;; [unrolled: 1-line block ×6, first 2 shown]
	v_mul_f64 v[43:44], v[38:39], v[41:42]
	v_fma_f64 v[35:36], v[38:39], v[41:42], -v[43:44]
	v_fma_f64 v[35:36], v[33:34], v[41:42], v[35:36]
	v_add_f64 v[41:42], v[43:44], v[35:36]
	v_add_f64 v[45:46], v[41:42], s[16:17]
	v_add_f64 v[43:44], v[41:42], -v[43:44]
	v_add_f64 v[49:50], v[45:46], s[46:47]
	v_add_f64 v[35:36], v[35:36], -v[43:44]
	v_fma_f64 v[43:44], v[38:39], v[25:26], -v[47:48]
	v_add_f64 v[41:42], v[41:42], -v[49:50]
	v_add_f64 v[35:36], v[35:36], s[48:49]
	v_fma_f64 v[38:39], v[38:39], v[23:24], v[43:44]
	v_ldexp_f64 v[23:24], v[23:24], 1
	v_add_f64 v[35:36], v[35:36], v[41:42]
	v_fma_f64 v[33:34], v[33:34], v[25:26], v[38:39]
	v_ldexp_f64 v[25:26], v[25:26], 1
	v_add_f64 v[38:39], v[45:46], v[35:36]
	v_add_f64 v[41:42], v[47:48], v[33:34]
	v_add_f64 v[43:44], v[45:46], -v[38:39]
	v_mul_f64 v[45:46], v[41:42], v[38:39]
	v_add_f64 v[47:48], v[41:42], -v[47:48]
	v_add_f64 v[35:36], v[35:36], v[43:44]
	v_fma_f64 v[43:44], v[41:42], v[38:39], -v[45:46]
	v_add_f64 v[33:34], v[33:34], -v[47:48]
	v_fma_f64 v[35:36], v[41:42], v[35:36], v[43:44]
	v_fma_f64 v[33:34], v[33:34], v[38:39], v[35:36]
	v_frexp_exp_i32_f64_e32 v38, v[21:22]
	v_add_f64 v[35:36], v[45:46], v[33:34]
	v_subbrev_co_u32_e32 v43, vcc, 0, v38, vcc
	v_cvt_f64_i32_e32 v[43:44], v43
	v_add_f64 v[38:39], v[25:26], v[35:36]
	v_add_f64 v[41:42], v[35:36], -v[45:46]
	v_mul_f64 v[45:46], v[43:44], s[50:51]
	v_add_f64 v[25:26], v[38:39], -v[25:26]
	v_add_f64 v[33:34], v[33:34], -v[41:42]
	v_fma_f64 v[41:42], v[43:44], s[50:51], -v[45:46]
	v_add_f64 v[25:26], v[35:36], -v[25:26]
	v_add_f64 v[23:24], v[23:24], v[33:34]
	v_fma_f64 v[33:34], v[43:44], s[52:53], v[41:42]
	v_add_f64 v[23:24], v[23:24], v[25:26]
	v_add_f64 v[25:26], v[45:46], v[33:34]
	;; [unrolled: 1-line block ×3, first 2 shown]
	v_add_f64 v[45:46], v[25:26], -v[45:46]
	v_add_f64 v[41:42], v[25:26], v[35:36]
	v_add_f64 v[38:39], v[35:36], -v[38:39]
	v_add_f64 v[33:34], v[33:34], -v[45:46]
	;; [unrolled: 1-line block ×6, first 2 shown]
	v_add_f64 v[38:39], v[33:34], v[23:24]
	v_add_f64 v[25:26], v[25:26], -v[47:48]
	v_add_f64 v[25:26], v[35:36], v[25:26]
	v_add_f64 v[35:36], v[38:39], -v[33:34]
	;; [unrolled: 2-line block ×3, first 2 shown]
	v_add_f64 v[23:24], v[23:24], -v[35:36]
	v_add_f64 v[43:44], v[41:42], v[25:26]
	v_add_f64 v[33:34], v[33:34], -v[38:39]
	v_add_f64 v[35:36], v[43:44], -v[41:42]
	v_add_f64 v[23:24], v[23:24], v[33:34]
	v_add_f64 v[25:26], v[25:26], -v[35:36]
	v_add_f64 v[23:24], v[23:24], v[25:26]
	v_add_f64 v[25:26], v[43:44], v[23:24]
	v_add_f64 v[33:34], v[25:26], -v[43:44]
	v_mul_f64 v[35:36], v[17:18], v[25:26]
	v_add_f64 v[23:24], v[23:24], -v[33:34]
	v_fma_f64 v[25:26], v[17:18], v[25:26], -v[35:36]
	v_cmp_class_f64_e64 vcc, v[35:36], s82
	v_fma_f64 v[25:26], v[17:18], v[23:24], v[25:26]
	v_add_f64 v[33:34], v[35:36], v[25:26]
	v_cndmask_b32_e32 v24, v34, v36, vcc
	v_cndmask_b32_e32 v23, v33, v35, vcc
	v_mul_f64 v[38:39], v[23:24], s[54:55]
	v_add_f64 v[33:34], v[33:34], -v[35:36]
	v_cmp_neq_f64_e64 vcc, |v[23:24]|, s[18:19]
	v_cmp_nlt_f64_e64 s[2:3], s[76:77], v[23:24]
	v_cmp_ngt_f64_e64 s[4:5], s[78:79], v[23:24]
	v_rndne_f64_e32 v[38:39], v[38:39]
	v_add_f64 v[25:26], v[25:26], -v[33:34]
	v_fma_f64 v[41:42], v[38:39], s[22:23], v[23:24]
	v_cndmask_b32_e32 v24, 0, v26, vcc
	v_cndmask_b32_e32 v23, 0, v25, vcc
	s_and_b64 vcc, s[4:5], s[2:3]
	v_fma_f64 v[41:42], v[38:39], s[56:57], v[41:42]
	v_cvt_i32_f64_e32 v38, v[38:39]
	v_fma_f64 v[43:44], v[41:42], s[58:59], v[5:6]
	v_fma_f64 v[43:44], v[41:42], v[43:44], s[60:61]
	;; [unrolled: 1-line block ×9, first 2 shown]
	v_fma_f64 v[43:44], v[41:42], v[43:44], 1.0
	v_fma_f64 v[41:42], v[41:42], v[43:44], 1.0
	v_ldexp_f64 v[35:36], v[41:42], v38
	v_cndmask_b32_e64 v33, v4, v36, s[2:3]
	s_xor_b64 s[2:3], s[14:15], s[20:21]
	v_cndmask_b32_e64 v26, 0, v33, s[4:5]
	v_cndmask_b32_e64 v33, v4, 0, s[2:3]
	v_cmp_neq_f64_e64 s[2:3], |v[21:22]|, 1.0
	v_cndmask_b32_e32 v25, 0, v35, vcc
	v_fma_f64 v[23:24], v[25:26], v[23:24], v[25:26]
	v_cmp_class_f64_e64 vcc, v[25:26], s82
	v_cmp_class_f64_e64 s[4:5], v[21:22], s82
	v_cndmask_b32_e64 v33, v37, v33, s[2:3]
	v_cmp_class_f64_e64 s[2:3], v[17:18], s82
	v_cndmask_b32_e32 v24, v24, v26, vcc
	v_and_b32_e32 v24, 0x7fffffff, v24
	v_cndmask_b32_e64 v26, v4, 0, s[6:7]
	v_cndmask_b32_e32 v23, v23, v25, vcc
	s_or_b64 vcc, s[24:25], s[4:5]
	v_cndmask_b32_e64 v24, v24, v33, s[2:3]
	v_cndmask_b32_e32 v24, v24, v26, vcc
	s_or_b64 s[2:3], vcc, s[2:3]
	v_cmp_o_f64_e64 vcc, |v[21:22]|, v[17:18]
	v_cndmask_b32_e64 v23, v23, 0, s[2:3]
	v_cndmask_b32_e32 v17, 0, v23, vcc
	v_cndmask_b32_e32 v18, v40, v24, vcc
	v_mul_f64 v[15:16], v[15:16], v[17:18]
	v_mul_f64 v[15:16], v[13:14], v[15:16]
	v_div_scale_f64 v[17:18], s[2:3], v[11:12], v[11:12], v[15:16]
	v_div_scale_f64 v[25:26], vcc, v[15:16], v[11:12], v[15:16]
	v_rcp_f64_e32 v[21:22], v[17:18]
	v_fma_f64 v[23:24], -v[17:18], v[21:22], 1.0
	v_fma_f64 v[21:22], v[21:22], v[23:24], v[21:22]
	v_fma_f64 v[23:24], -v[17:18], v[21:22], 1.0
	v_fma_f64 v[21:22], v[21:22], v[23:24], v[21:22]
	v_mul_f64 v[23:24], v[25:26], v[21:22]
	v_fma_f64 v[17:18], -v[17:18], v[23:24], v[25:26]
	v_div_fmas_f64 v[17:18], v[17:18], v[21:22], v[23:24]
	v_div_fixup_f64 v[15:16], v[17:18], v[11:12], v[15:16]
	s_branch .LBB30_11
.LBB30_14:
	s_endpgm
	.section	.rodata,"a",@progbits
	.p2align	6, 0x0
	.amdhsa_kernel _ZN2at6native12_GLOBAL__N_131cdist_backward_kernel_cuda_implIdNS1_5distsIdE1pEEEvPT_PKS6_S9_S9_S9_S6_lllllll
		.amdhsa_group_segment_fixed_size 0
		.amdhsa_private_segment_fixed_size 0
		.amdhsa_kernarg_size 360
		.amdhsa_user_sgpr_count 6
		.amdhsa_user_sgpr_private_segment_buffer 1
		.amdhsa_user_sgpr_dispatch_ptr 0
		.amdhsa_user_sgpr_queue_ptr 0
		.amdhsa_user_sgpr_kernarg_segment_ptr 1
		.amdhsa_user_sgpr_dispatch_id 0
		.amdhsa_user_sgpr_flat_scratch_init 0
		.amdhsa_user_sgpr_private_segment_size 0
		.amdhsa_uses_dynamic_stack 0
		.amdhsa_system_sgpr_private_segment_wavefront_offset 0
		.amdhsa_system_sgpr_workgroup_id_x 1
		.amdhsa_system_sgpr_workgroup_id_y 1
		.amdhsa_system_sgpr_workgroup_id_z 1
		.amdhsa_system_sgpr_workgroup_info 0
		.amdhsa_system_vgpr_workitem_id 1
		.amdhsa_next_free_vgpr 60
		.amdhsa_next_free_sgpr 83
		.amdhsa_reserve_vcc 1
		.amdhsa_reserve_flat_scratch 0
		.amdhsa_float_round_mode_32 0
		.amdhsa_float_round_mode_16_64 0
		.amdhsa_float_denorm_mode_32 3
		.amdhsa_float_denorm_mode_16_64 3
		.amdhsa_dx10_clamp 1
		.amdhsa_ieee_mode 1
		.amdhsa_fp16_overflow 0
		.amdhsa_exception_fp_ieee_invalid_op 0
		.amdhsa_exception_fp_denorm_src 0
		.amdhsa_exception_fp_ieee_div_zero 0
		.amdhsa_exception_fp_ieee_overflow 0
		.amdhsa_exception_fp_ieee_underflow 0
		.amdhsa_exception_fp_ieee_inexact 0
		.amdhsa_exception_int_div_zero 0
	.end_amdhsa_kernel
	.section	.text._ZN2at6native12_GLOBAL__N_131cdist_backward_kernel_cuda_implIdNS1_5distsIdE1pEEEvPT_PKS6_S9_S9_S9_S6_lllllll,"axG",@progbits,_ZN2at6native12_GLOBAL__N_131cdist_backward_kernel_cuda_implIdNS1_5distsIdE1pEEEvPT_PKS6_S9_S9_S9_S6_lllllll,comdat
.Lfunc_end30:
	.size	_ZN2at6native12_GLOBAL__N_131cdist_backward_kernel_cuda_implIdNS1_5distsIdE1pEEEvPT_PKS6_S9_S9_S9_S6_lllllll, .Lfunc_end30-_ZN2at6native12_GLOBAL__N_131cdist_backward_kernel_cuda_implIdNS1_5distsIdE1pEEEvPT_PKS6_S9_S9_S9_S6_lllllll
                                        ; -- End function
	.set _ZN2at6native12_GLOBAL__N_131cdist_backward_kernel_cuda_implIdNS1_5distsIdE1pEEEvPT_PKS6_S9_S9_S9_S6_lllllll.num_vgpr, 60
	.set _ZN2at6native12_GLOBAL__N_131cdist_backward_kernel_cuda_implIdNS1_5distsIdE1pEEEvPT_PKS6_S9_S9_S9_S6_lllllll.num_agpr, 0
	.set _ZN2at6native12_GLOBAL__N_131cdist_backward_kernel_cuda_implIdNS1_5distsIdE1pEEEvPT_PKS6_S9_S9_S9_S6_lllllll.numbered_sgpr, 83
	.set _ZN2at6native12_GLOBAL__N_131cdist_backward_kernel_cuda_implIdNS1_5distsIdE1pEEEvPT_PKS6_S9_S9_S9_S6_lllllll.num_named_barrier, 0
	.set _ZN2at6native12_GLOBAL__N_131cdist_backward_kernel_cuda_implIdNS1_5distsIdE1pEEEvPT_PKS6_S9_S9_S9_S6_lllllll.private_seg_size, 0
	.set _ZN2at6native12_GLOBAL__N_131cdist_backward_kernel_cuda_implIdNS1_5distsIdE1pEEEvPT_PKS6_S9_S9_S9_S6_lllllll.uses_vcc, 1
	.set _ZN2at6native12_GLOBAL__N_131cdist_backward_kernel_cuda_implIdNS1_5distsIdE1pEEEvPT_PKS6_S9_S9_S9_S6_lllllll.uses_flat_scratch, 0
	.set _ZN2at6native12_GLOBAL__N_131cdist_backward_kernel_cuda_implIdNS1_5distsIdE1pEEEvPT_PKS6_S9_S9_S9_S6_lllllll.has_dyn_sized_stack, 0
	.set _ZN2at6native12_GLOBAL__N_131cdist_backward_kernel_cuda_implIdNS1_5distsIdE1pEEEvPT_PKS6_S9_S9_S9_S6_lllllll.has_recursion, 0
	.set _ZN2at6native12_GLOBAL__N_131cdist_backward_kernel_cuda_implIdNS1_5distsIdE1pEEEvPT_PKS6_S9_S9_S9_S6_lllllll.has_indirect_call, 0
	.section	.AMDGPU.csdata,"",@progbits
; Kernel info:
; codeLenInByte = 5584
; TotalNumSgprs: 87
; NumVgprs: 60
; ScratchSize: 0
; MemoryBound: 0
; FloatMode: 240
; IeeeMode: 1
; LDSByteSize: 0 bytes/workgroup (compile time only)
; SGPRBlocks: 10
; VGPRBlocks: 14
; NumSGPRsForWavesPerEU: 87
; NumVGPRsForWavesPerEU: 60
; Occupancy: 4
; WaveLimiterHint : 0
; COMPUTE_PGM_RSRC2:SCRATCH_EN: 0
; COMPUTE_PGM_RSRC2:USER_SGPR: 6
; COMPUTE_PGM_RSRC2:TRAP_HANDLER: 0
; COMPUTE_PGM_RSRC2:TGID_X_EN: 1
; COMPUTE_PGM_RSRC2:TGID_Y_EN: 1
; COMPUTE_PGM_RSRC2:TGID_Z_EN: 1
; COMPUTE_PGM_RSRC2:TIDIG_COMP_CNT: 1
	.section	.text._ZN2at6native12_GLOBAL__N_131cdist_backward_kernel_cuda_implIdNS1_5distsIdE3oneEEEvPT_PKS6_S9_S9_S9_S6_lllllll,"axG",@progbits,_ZN2at6native12_GLOBAL__N_131cdist_backward_kernel_cuda_implIdNS1_5distsIdE3oneEEEvPT_PKS6_S9_S9_S9_S6_lllllll,comdat
	.globl	_ZN2at6native12_GLOBAL__N_131cdist_backward_kernel_cuda_implIdNS1_5distsIdE3oneEEEvPT_PKS6_S9_S9_S9_S6_lllllll ; -- Begin function _ZN2at6native12_GLOBAL__N_131cdist_backward_kernel_cuda_implIdNS1_5distsIdE3oneEEEvPT_PKS6_S9_S9_S9_S6_lllllll
	.p2align	8
	.type	_ZN2at6native12_GLOBAL__N_131cdist_backward_kernel_cuda_implIdNS1_5distsIdE3oneEEEvPT_PKS6_S9_S9_S9_S6_lllllll,@function
_ZN2at6native12_GLOBAL__N_131cdist_backward_kernel_cuda_implIdNS1_5distsIdE3oneEEEvPT_PKS6_S9_S9_S9_S6_lllllll: ; @_ZN2at6native12_GLOBAL__N_131cdist_backward_kernel_cuda_implIdNS1_5distsIdE3oneEEEvPT_PKS6_S9_S9_S9_S6_lllllll
; %bb.0:
	s_load_dwordx2 s[0:1], s[4:5], 0x70
	s_load_dwordx8 s[12:19], s[4:5], 0x30
	s_add_u32 s2, s4, 0x68
	s_addc_u32 s3, s5, 0
	s_waitcnt lgkmcnt(0)
	s_mul_i32 s0, s0, s7
	s_add_i32 s0, s0, s8
	s_lshr_b32 s7, s1, 16
	s_mul_i32 s0, s0, s7
	v_add_u32_e32 v2, s0, v1
	v_ashrrev_i32_e32 v3, 31, v2
	v_cmp_gt_i64_e32 vcc, s[18:19], v[2:3]
	s_and_saveexec_b64 s[8:9], vcc
	s_cbranch_execz .LBB31_12
; %bb.1:
	s_and_b32 s18, s1, 0xffff
	s_load_dwordx8 s[20:27], s[4:5], 0x50
	s_mul_i32 s6, s6, s18
	v_add_u32_e32 v0, s6, v0
	v_ashrrev_i32_e32 v1, 31, v0
	v_cmp_gt_i64_e32 vcc, s[16:17], v[0:1]
	s_and_b64 exec, exec, vcc
	s_cbranch_execz .LBB31_12
; %bb.2:
	s_waitcnt lgkmcnt(0)
	v_or_b32_e32 v5, s21, v3
	v_mov_b32_e32 v4, 0
	v_cmp_ne_u64_e32 vcc, 0, v[4:5]
                                        ; implicit-def: $vgpr4_vgpr5
	s_and_saveexec_b64 s[0:1], vcc
	s_xor_b64 s[6:7], exec, s[0:1]
	s_cbranch_execz .LBB31_4
; %bb.3:
	s_ashr_i32 s8, s21, 31
	s_add_u32 s0, s20, s8
	s_mov_b32 s9, s8
	s_addc_u32 s1, s21, s8
	s_xor_b64 s[10:11], s[0:1], s[8:9]
	v_cvt_f32_u32_e32 v4, s10
	v_cvt_f32_u32_e32 v5, s11
	s_sub_u32 s9, 0, s10
	s_subb_u32 s19, 0, s11
	v_ashrrev_i32_e32 v8, 31, v3
	v_madmk_f32 v4, v5, 0x4f800000, v4
	v_rcp_f32_e32 v4, v4
	v_mul_f32_e32 v4, 0x5f7ffffc, v4
	v_mul_f32_e32 v5, 0x2f800000, v4
	v_trunc_f32_e32 v5, v5
	v_madmk_f32 v4, v5, 0xcf800000, v4
	v_cvt_u32_f32_e32 v5, v5
	v_cvt_u32_f32_e32 v4, v4
	v_readfirstlane_b32 s26, v5
	v_readfirstlane_b32 s0, v4
	s_mul_i32 s1, s9, s26
	s_mul_hi_u32 s28, s9, s0
	s_mul_i32 s27, s19, s0
	s_add_i32 s1, s28, s1
	s_add_i32 s1, s1, s27
	s_mul_i32 s29, s9, s0
	s_mul_i32 s28, s0, s1
	s_mul_hi_u32 s30, s0, s29
	s_mul_hi_u32 s27, s0, s1
	s_add_u32 s28, s30, s28
	s_addc_u32 s27, 0, s27
	s_mul_hi_u32 s31, s26, s29
	s_mul_i32 s29, s26, s29
	s_add_u32 s28, s28, s29
	s_mul_hi_u32 s30, s26, s1
	s_addc_u32 s27, s27, s31
	s_addc_u32 s28, s30, 0
	s_mul_i32 s1, s26, s1
	s_add_u32 s1, s27, s1
	s_addc_u32 s27, 0, s28
	s_add_u32 s28, s0, s1
	s_cselect_b64 s[0:1], -1, 0
	s_cmp_lg_u64 s[0:1], 0
	s_addc_u32 s26, s26, s27
	s_mul_i32 s0, s9, s26
	s_mul_hi_u32 s1, s9, s28
	s_add_i32 s0, s1, s0
	s_mul_i32 s19, s19, s28
	s_add_i32 s0, s0, s19
	s_mul_i32 s9, s9, s28
	s_mul_hi_u32 s19, s26, s9
	s_mul_i32 s27, s26, s9
	s_mul_i32 s30, s28, s0
	s_mul_hi_u32 s9, s28, s9
	s_mul_hi_u32 s29, s28, s0
	s_add_u32 s9, s9, s30
	s_addc_u32 s29, 0, s29
	s_add_u32 s9, s9, s27
	s_mul_hi_u32 s1, s26, s0
	s_addc_u32 s9, s29, s19
	s_addc_u32 s1, s1, 0
	s_mul_i32 s0, s26, s0
	s_add_u32 s0, s9, s0
	s_addc_u32 s9, 0, s1
	s_add_u32 s19, s28, s0
	s_cselect_b64 s[0:1], -1, 0
	s_cmp_lg_u64 s[0:1], 0
	v_add_co_u32_e32 v4, vcc, v2, v8
	s_addc_u32 s9, s26, s9
	v_xor_b32_e32 v9, v4, v8
	v_mad_u64_u32 v[4:5], s[0:1], v9, s9, 0
	v_mul_hi_u32 v7, v9, s19
	v_addc_co_u32_e32 v6, vcc, v3, v8, vcc
	v_xor_b32_e32 v10, v6, v8
	v_add_co_u32_e32 v11, vcc, v7, v4
	v_addc_co_u32_e32 v12, vcc, 0, v5, vcc
	v_mad_u64_u32 v[4:5], s[0:1], v10, s19, 0
	v_mad_u64_u32 v[6:7], s[0:1], v10, s9, 0
	v_add_co_u32_e32 v4, vcc, v11, v4
	v_addc_co_u32_e32 v4, vcc, v12, v5, vcc
	v_addc_co_u32_e32 v5, vcc, 0, v7, vcc
	v_add_co_u32_e32 v6, vcc, v4, v6
	v_addc_co_u32_e32 v7, vcc, 0, v5, vcc
	v_mul_lo_u32 v11, s11, v6
	v_mul_lo_u32 v12, s10, v7
	v_mad_u64_u32 v[4:5], s[0:1], s10, v6, 0
	v_add3_u32 v5, v5, v12, v11
	v_sub_u32_e32 v11, v10, v5
	v_mov_b32_e32 v12, s11
	v_sub_co_u32_e32 v4, vcc, v9, v4
	v_subb_co_u32_e64 v9, s[0:1], v11, v12, vcc
	v_subrev_co_u32_e64 v11, s[0:1], s10, v4
	v_subbrev_co_u32_e64 v9, s[0:1], 0, v9, s[0:1]
	v_cmp_le_u32_e64 s[0:1], s11, v9
	v_cndmask_b32_e64 v12, 0, -1, s[0:1]
	v_cmp_le_u32_e64 s[0:1], s10, v11
	v_cndmask_b32_e64 v11, 0, -1, s[0:1]
	v_cmp_eq_u32_e64 s[0:1], s11, v9
	v_cndmask_b32_e64 v9, v12, v11, s[0:1]
	v_add_co_u32_e64 v11, s[0:1], 2, v6
	v_subb_co_u32_e32 v5, vcc, v10, v5, vcc
	v_addc_co_u32_e64 v12, s[0:1], 0, v7, s[0:1]
	v_cmp_le_u32_e32 vcc, s11, v5
	v_add_co_u32_e64 v13, s[0:1], 1, v6
	v_cndmask_b32_e64 v10, 0, -1, vcc
	v_cmp_le_u32_e32 vcc, s10, v4
	v_addc_co_u32_e64 v14, s[0:1], 0, v7, s[0:1]
	v_cndmask_b32_e64 v4, 0, -1, vcc
	v_cmp_eq_u32_e32 vcc, s11, v5
	v_cmp_ne_u32_e64 s[0:1], 0, v9
	v_cndmask_b32_e32 v4, v10, v4, vcc
	v_cndmask_b32_e64 v9, v14, v12, s[0:1]
	v_cmp_ne_u32_e32 vcc, 0, v4
	v_cndmask_b32_e64 v5, v13, v11, s[0:1]
	v_cndmask_b32_e32 v4, v7, v9, vcc
	v_cndmask_b32_e32 v5, v6, v5, vcc
	v_xor_b32_e32 v6, s8, v8
	v_xor_b32_e32 v7, v4, v6
	v_xor_b32_e32 v4, v5, v6
	v_sub_co_u32_e32 v4, vcc, v4, v6
	v_subb_co_u32_e32 v5, vcc, v7, v6, vcc
.LBB31_4:
	s_andn2_saveexec_b64 s[0:1], s[6:7]
	s_cbranch_execz .LBB31_6
; %bb.5:
	v_cvt_f32_u32_e32 v4, s20
	s_sub_i32 s6, 0, s20
	v_rcp_iflag_f32_e32 v4, v4
	v_mul_f32_e32 v4, 0x4f7ffffe, v4
	v_cvt_u32_f32_e32 v4, v4
	v_mul_lo_u32 v5, s6, v4
	v_mul_hi_u32 v5, v4, v5
	v_add_u32_e32 v4, v4, v5
	v_mul_hi_u32 v4, v2, v4
	v_mul_lo_u32 v5, v4, s20
	v_add_u32_e32 v6, 1, v4
	v_sub_u32_e32 v5, v2, v5
	v_subrev_u32_e32 v7, s20, v5
	v_cmp_le_u32_e32 vcc, s20, v5
	v_cndmask_b32_e32 v5, v5, v7, vcc
	v_cndmask_b32_e32 v4, v4, v6, vcc
	v_add_u32_e32 v6, 1, v4
	v_cmp_le_u32_e32 vcc, s20, v5
	v_cndmask_b32_e32 v4, v4, v6, vcc
	v_mov_b32_e32 v5, 0
.LBB31_6:
	s_or_b64 exec, exec, s[0:1]
	v_mul_lo_u32 v7, v5, s20
	v_mul_lo_u32 v8, v4, s21
	v_mad_u64_u32 v[5:6], s[0:1], v4, s20, 0
	v_add3_u32 v6, v6, v8, v7
	v_sub_co_u32_e32 v8, vcc, v2, v5
	v_subb_co_u32_e32 v9, vcc, v3, v6, vcc
	v_or_b32_e32 v7, s15, v9
	v_mov_b32_e32 v6, 0
	v_cmp_ne_u64_e32 vcc, 0, v[6:7]
                                        ; implicit-def: $vgpr6_vgpr7
	s_and_saveexec_b64 s[0:1], vcc
	s_xor_b64 s[6:7], exec, s[0:1]
	s_cbranch_execz .LBB31_8
; %bb.7:
	s_ashr_i32 s8, s15, 31
	s_add_u32 s0, s14, s8
	s_mov_b32 s9, s8
	s_addc_u32 s1, s15, s8
	s_xor_b64 s[10:11], s[0:1], s[8:9]
	v_cvt_f32_u32_e32 v6, s10
	v_cvt_f32_u32_e32 v7, s11
	s_sub_u32 s9, 0, s10
	s_subb_u32 s19, 0, s11
	v_ashrrev_i32_e32 v12, 31, v9
	v_madmk_f32 v6, v7, 0x4f800000, v6
	v_rcp_f32_e32 v6, v6
	v_mul_f32_e32 v6, 0x5f7ffffc, v6
	v_mul_f32_e32 v7, 0x2f800000, v6
	v_trunc_f32_e32 v7, v7
	v_madmk_f32 v6, v7, 0xcf800000, v6
	v_cvt_u32_f32_e32 v7, v7
	v_cvt_u32_f32_e32 v6, v6
	v_readfirstlane_b32 s20, v7
	v_readfirstlane_b32 s0, v6
	s_mul_i32 s1, s9, s20
	s_mul_hi_u32 s26, s9, s0
	s_mul_i32 s21, s19, s0
	s_add_i32 s1, s26, s1
	s_add_i32 s1, s1, s21
	s_mul_i32 s27, s9, s0
	s_mul_i32 s26, s0, s1
	s_mul_hi_u32 s28, s0, s27
	s_mul_hi_u32 s21, s0, s1
	s_add_u32 s26, s28, s26
	s_addc_u32 s21, 0, s21
	s_mul_hi_u32 s29, s20, s27
	s_mul_i32 s27, s20, s27
	s_add_u32 s26, s26, s27
	s_mul_hi_u32 s28, s20, s1
	s_addc_u32 s21, s21, s29
	s_addc_u32 s26, s28, 0
	s_mul_i32 s1, s20, s1
	s_add_u32 s1, s21, s1
	s_addc_u32 s21, 0, s26
	s_add_u32 s26, s0, s1
	s_cselect_b64 s[0:1], -1, 0
	s_cmp_lg_u64 s[0:1], 0
	s_addc_u32 s20, s20, s21
	s_mul_i32 s0, s9, s20
	s_mul_hi_u32 s1, s9, s26
	s_add_i32 s0, s1, s0
	s_mul_i32 s19, s19, s26
	s_add_i32 s0, s0, s19
	s_mul_i32 s9, s9, s26
	s_mul_hi_u32 s19, s20, s9
	s_mul_i32 s21, s20, s9
	s_mul_i32 s28, s26, s0
	s_mul_hi_u32 s9, s26, s9
	s_mul_hi_u32 s27, s26, s0
	s_add_u32 s9, s9, s28
	s_addc_u32 s27, 0, s27
	s_add_u32 s9, s9, s21
	s_mul_hi_u32 s1, s20, s0
	s_addc_u32 s9, s27, s19
	s_addc_u32 s1, s1, 0
	s_mul_i32 s0, s20, s0
	s_add_u32 s0, s9, s0
	s_addc_u32 s9, 0, s1
	s_add_u32 s19, s26, s0
	s_cselect_b64 s[0:1], -1, 0
	s_cmp_lg_u64 s[0:1], 0
	v_add_co_u32_e32 v6, vcc, v8, v12
	s_addc_u32 s9, s20, s9
	v_xor_b32_e32 v13, v6, v12
	v_mad_u64_u32 v[6:7], s[0:1], v13, s9, 0
	v_mul_hi_u32 v11, v13, s19
	v_addc_co_u32_e32 v10, vcc, v9, v12, vcc
	v_xor_b32_e32 v14, v10, v12
	v_add_co_u32_e32 v15, vcc, v11, v6
	v_addc_co_u32_e32 v16, vcc, 0, v7, vcc
	v_mad_u64_u32 v[6:7], s[0:1], v14, s19, 0
	v_mad_u64_u32 v[10:11], s[0:1], v14, s9, 0
	v_add_co_u32_e32 v6, vcc, v15, v6
	v_addc_co_u32_e32 v6, vcc, v16, v7, vcc
	v_addc_co_u32_e32 v7, vcc, 0, v11, vcc
	v_add_co_u32_e32 v10, vcc, v6, v10
	v_addc_co_u32_e32 v11, vcc, 0, v7, vcc
	v_mul_lo_u32 v15, s11, v10
	v_mul_lo_u32 v16, s10, v11
	v_mad_u64_u32 v[6:7], s[0:1], s10, v10, 0
	v_add3_u32 v7, v7, v16, v15
	v_sub_u32_e32 v15, v14, v7
	v_mov_b32_e32 v16, s11
	v_sub_co_u32_e32 v6, vcc, v13, v6
	v_subb_co_u32_e64 v13, s[0:1], v15, v16, vcc
	v_subrev_co_u32_e64 v15, s[0:1], s10, v6
	v_subbrev_co_u32_e64 v13, s[0:1], 0, v13, s[0:1]
	v_cmp_le_u32_e64 s[0:1], s11, v13
	v_cndmask_b32_e64 v16, 0, -1, s[0:1]
	v_cmp_le_u32_e64 s[0:1], s10, v15
	v_cndmask_b32_e64 v15, 0, -1, s[0:1]
	v_cmp_eq_u32_e64 s[0:1], s11, v13
	v_cndmask_b32_e64 v13, v16, v15, s[0:1]
	v_add_co_u32_e64 v15, s[0:1], 2, v10
	v_subb_co_u32_e32 v7, vcc, v14, v7, vcc
	v_addc_co_u32_e64 v16, s[0:1], 0, v11, s[0:1]
	v_cmp_le_u32_e32 vcc, s11, v7
	v_add_co_u32_e64 v17, s[0:1], 1, v10
	v_cndmask_b32_e64 v14, 0, -1, vcc
	v_cmp_le_u32_e32 vcc, s10, v6
	v_addc_co_u32_e64 v18, s[0:1], 0, v11, s[0:1]
	v_cndmask_b32_e64 v6, 0, -1, vcc
	v_cmp_eq_u32_e32 vcc, s11, v7
	v_cmp_ne_u32_e64 s[0:1], 0, v13
	v_cndmask_b32_e32 v6, v14, v6, vcc
	v_cndmask_b32_e64 v13, v18, v16, s[0:1]
	v_cmp_ne_u32_e32 vcc, 0, v6
	v_cndmask_b32_e64 v7, v17, v15, s[0:1]
	v_cndmask_b32_e32 v6, v11, v13, vcc
	v_cndmask_b32_e32 v7, v10, v7, vcc
	v_xor_b32_e32 v10, s8, v12
	v_xor_b32_e32 v11, v6, v10
	;; [unrolled: 1-line block ×3, first 2 shown]
	v_sub_co_u32_e32 v6, vcc, v6, v10
	v_subb_co_u32_e32 v7, vcc, v11, v10, vcc
.LBB31_8:
	s_or_saveexec_b64 s[0:1], s[6:7]
	s_load_dword s2, s[2:3], 0x0
	s_xor_b64 exec, exec, s[0:1]
	s_cbranch_execz .LBB31_10
; %bb.9:
	v_cvt_f32_u32_e32 v6, s14
	s_sub_i32 s3, 0, s14
	v_rcp_iflag_f32_e32 v6, v6
	v_mul_f32_e32 v6, 0x4f7ffffe, v6
	v_cvt_u32_f32_e32 v6, v6
	v_mul_lo_u32 v7, s3, v6
	v_mul_hi_u32 v7, v6, v7
	v_add_u32_e32 v6, v6, v7
	v_mul_hi_u32 v6, v8, v6
	v_mul_lo_u32 v7, v6, s14
	v_add_u32_e32 v10, 1, v6
	v_sub_u32_e32 v7, v8, v7
	v_subrev_u32_e32 v11, s14, v7
	v_cmp_le_u32_e32 vcc, s14, v7
	v_cndmask_b32_e32 v7, v7, v11, vcc
	v_cndmask_b32_e32 v6, v6, v10, vcc
	v_add_u32_e32 v10, 1, v6
	v_cmp_le_u32_e32 vcc, s14, v7
	v_cndmask_b32_e32 v6, v6, v10, vcc
	v_mov_b32_e32 v7, 0
.LBB31_10:
	s_or_b64 exec, exec, s[0:1]
	s_load_dwordx8 s[36:43], s[4:5], 0x0
	v_lshlrev_b64 v[2:3], 3, v[2:3]
	v_ashrrev_i32_e32 v16, 31, v4
	v_mul_lo_u32 v12, v4, s23
	v_mul_lo_u32 v13, v16, s22
	s_waitcnt lgkmcnt(0)
	v_mov_b32_e32 v14, s39
	v_add_co_u32_e32 v2, vcc, s38, v2
	v_addc_co_u32_e32 v3, vcc, v14, v3, vcc
	global_load_dwordx2 v[2:3], v[2:3], off
	v_mad_u64_u32 v[10:11], s[0:1], v4, s22, 0
	v_mul_lo_u32 v14, v7, s16
	v_mul_lo_u32 v15, v6, s17
	v_add3_u32 v11, v11, v12, v13
	v_lshlrev_b64 v[10:11], 3, v[10:11]
	v_mov_b32_e32 v12, s41
	v_add_co_u32_e32 v13, vcc, s40, v10
	v_addc_co_u32_e32 v12, vcc, v12, v11, vcc
	v_mad_u64_u32 v[10:11], s[0:1], v6, s16, 0
	v_mul_lo_u32 v17, v6, s15
	s_lshl_b64 s[0:1], s[16:17], 3
	v_add3_u32 v11, v11, v15, v14
	v_lshlrev_b64 v[10:11], 3, v[10:11]
	v_mad_u64_u32 v[14:15], s[4:5], v6, s14, 0
	v_add_co_u32_e32 v10, vcc, v13, v10
	v_mul_lo_u32 v13, s16, v5
	v_mul_lo_u32 v5, v7, s14
	v_addc_co_u32_e32 v11, vcc, v12, v11, vcc
	v_mov_b32_e32 v12, 0
	v_add3_u32 v5, v15, v17, v5
	v_sub_co_u32_e32 v17, vcc, v8, v14
	v_subb_co_u32_e32 v19, vcc, v9, v5, vcc
	v_mul_lo_u32 v8, v17, s13
	v_mul_lo_u32 v9, v19, s12
	v_mad_u64_u32 v[5:6], s[4:5], v17, s12, v[6:7]
	v_ashrrev_i64 v[12:13], 29, v[12:13]
	v_mov_b32_e32 v15, s37
	v_add_co_u32_e32 v20, vcc, s36, v12
	v_add3_u32 v6, v9, v6, v8
	v_addc_co_u32_e32 v21, vcc, v15, v13, vcc
	v_mul_lo_u32 v7, v6, s16
	v_mul_lo_u32 v8, v5, s17
	v_mad_u64_u32 v[12:13], s[4:5], v5, s16, 0
	v_mov_b32_e32 v18, s1
	v_add_co_u32_e32 v5, vcc, s0, v10
	v_addc_co_u32_e32 v6, vcc, v11, v18, vcc
	v_lshlrev_b64 v[0:1], 3, v[0:1]
	v_mul_lo_u32 v18, v4, s25
	v_mul_lo_u32 v16, v16, s24
	v_mad_u64_u32 v[14:15], s[0:1], v4, s24, 0
	v_add3_u32 v13, v13, v8, v7
	v_add_co_u32_e32 v7, vcc, v10, v0
	v_lshlrev_b64 v[12:13], 3, v[12:13]
	v_addc_co_u32_e32 v8, vcc, v11, v1, vcc
	v_add_co_u32_e32 v4, vcc, v20, v12
	v_add3_u32 v15, v15, v18, v16
	v_addc_co_u32_e32 v9, vcc, v21, v13, vcc
	v_lshlrev_b64 v[12:13], 3, v[14:15]
	v_mul_lo_u32 v18, v19, s16
	v_mul_lo_u32 v19, v17, s17
	v_mad_u64_u32 v[14:15], s[0:1], v17, s16, 0
	v_mov_b32_e32 v16, s43
	v_add_co_u32_e32 v17, vcc, s42, v12
	v_add3_u32 v15, v15, v19, v18
	v_addc_co_u32_e32 v16, vcc, v16, v13, vcc
	v_lshlrev_b64 v[12:13], 3, v[14:15]
	s_mul_i32 s0, s2, s18
	v_add_co_u32_e32 v12, vcc, v17, v12
	s_ashr_i32 s1, s0, 31
	v_addc_co_u32_e32 v13, vcc, v16, v13, vcc
	s_lshl_b64 s[2:3], s[0:1], 3
	s_mov_b64 s[4:5], 0
.LBB31_11:                              ; =>This Inner Loop Header: Depth=1
	v_add_co_u32_e32 v14, vcc, v12, v0
	v_addc_co_u32_e32 v15, vcc, v13, v1, vcc
	v_add_co_u32_e32 v16, vcc, v10, v0
	v_addc_co_u32_e32 v17, vcc, v11, v1, vcc
	global_load_dwordx2 v[18:19], v[16:17], off
	global_load_dwordx2 v[20:21], v[14:15], off
	v_add_co_u32_e32 v14, vcc, v4, v0
	v_addc_co_u32_e32 v15, vcc, v9, v1, vcc
	v_add_co_u32_e64 v7, s[0:1], s2, v7
	s_waitcnt vmcnt(0)
	v_add_f64 v[16:17], v[18:19], -v[20:21]
	v_mov_b32_e32 v18, s3
	v_addc_co_u32_e64 v8, s[0:1], v8, v18, s[0:1]
	v_cmp_ge_u64_e64 s[0:1], v[7:8], v[5:6]
	s_or_b64 s[4:5], s[0:1], s[4:5]
	v_cmp_lt_f64_e32 vcc, 0, v[16:17]
	v_cndmask_b32_e64 v19, 0, 1, vcc
	v_cmp_gt_f64_e32 vcc, 0, v[16:17]
	v_subbrev_co_u32_e32 v16, vcc, 0, v19, vcc
	v_cvt_f64_i32_e32 v[16:17], v16
	v_add_co_u32_e32 v0, vcc, s2, v0
	v_addc_co_u32_e32 v1, vcc, v1, v18, vcc
	v_mul_f64 v[16:17], v[2:3], v[16:17]
	global_store_dwordx2 v[14:15], v[16:17], off
	s_andn2_b64 exec, exec, s[4:5]
	s_cbranch_execnz .LBB31_11
.LBB31_12:
	s_endpgm
	.section	.rodata,"a",@progbits
	.p2align	6, 0x0
	.amdhsa_kernel _ZN2at6native12_GLOBAL__N_131cdist_backward_kernel_cuda_implIdNS1_5distsIdE3oneEEEvPT_PKS6_S9_S9_S9_S6_lllllll
		.amdhsa_group_segment_fixed_size 0
		.amdhsa_private_segment_fixed_size 0
		.amdhsa_kernarg_size 360
		.amdhsa_user_sgpr_count 6
		.amdhsa_user_sgpr_private_segment_buffer 1
		.amdhsa_user_sgpr_dispatch_ptr 0
		.amdhsa_user_sgpr_queue_ptr 0
		.amdhsa_user_sgpr_kernarg_segment_ptr 1
		.amdhsa_user_sgpr_dispatch_id 0
		.amdhsa_user_sgpr_flat_scratch_init 0
		.amdhsa_user_sgpr_private_segment_size 0
		.amdhsa_uses_dynamic_stack 0
		.amdhsa_system_sgpr_private_segment_wavefront_offset 0
		.amdhsa_system_sgpr_workgroup_id_x 1
		.amdhsa_system_sgpr_workgroup_id_y 1
		.amdhsa_system_sgpr_workgroup_id_z 1
		.amdhsa_system_sgpr_workgroup_info 0
		.amdhsa_system_vgpr_workitem_id 1
		.amdhsa_next_free_vgpr 22
		.amdhsa_next_free_sgpr 44
		.amdhsa_reserve_vcc 1
		.amdhsa_reserve_flat_scratch 0
		.amdhsa_float_round_mode_32 0
		.amdhsa_float_round_mode_16_64 0
		.amdhsa_float_denorm_mode_32 3
		.amdhsa_float_denorm_mode_16_64 3
		.amdhsa_dx10_clamp 1
		.amdhsa_ieee_mode 1
		.amdhsa_fp16_overflow 0
		.amdhsa_exception_fp_ieee_invalid_op 0
		.amdhsa_exception_fp_denorm_src 0
		.amdhsa_exception_fp_ieee_div_zero 0
		.amdhsa_exception_fp_ieee_overflow 0
		.amdhsa_exception_fp_ieee_underflow 0
		.amdhsa_exception_fp_ieee_inexact 0
		.amdhsa_exception_int_div_zero 0
	.end_amdhsa_kernel
	.section	.text._ZN2at6native12_GLOBAL__N_131cdist_backward_kernel_cuda_implIdNS1_5distsIdE3oneEEEvPT_PKS6_S9_S9_S9_S6_lllllll,"axG",@progbits,_ZN2at6native12_GLOBAL__N_131cdist_backward_kernel_cuda_implIdNS1_5distsIdE3oneEEEvPT_PKS6_S9_S9_S9_S6_lllllll,comdat
.Lfunc_end31:
	.size	_ZN2at6native12_GLOBAL__N_131cdist_backward_kernel_cuda_implIdNS1_5distsIdE3oneEEEvPT_PKS6_S9_S9_S9_S6_lllllll, .Lfunc_end31-_ZN2at6native12_GLOBAL__N_131cdist_backward_kernel_cuda_implIdNS1_5distsIdE3oneEEEvPT_PKS6_S9_S9_S9_S6_lllllll
                                        ; -- End function
	.set _ZN2at6native12_GLOBAL__N_131cdist_backward_kernel_cuda_implIdNS1_5distsIdE3oneEEEvPT_PKS6_S9_S9_S9_S6_lllllll.num_vgpr, 22
	.set _ZN2at6native12_GLOBAL__N_131cdist_backward_kernel_cuda_implIdNS1_5distsIdE3oneEEEvPT_PKS6_S9_S9_S9_S6_lllllll.num_agpr, 0
	.set _ZN2at6native12_GLOBAL__N_131cdist_backward_kernel_cuda_implIdNS1_5distsIdE3oneEEEvPT_PKS6_S9_S9_S9_S6_lllllll.numbered_sgpr, 44
	.set _ZN2at6native12_GLOBAL__N_131cdist_backward_kernel_cuda_implIdNS1_5distsIdE3oneEEEvPT_PKS6_S9_S9_S9_S6_lllllll.num_named_barrier, 0
	.set _ZN2at6native12_GLOBAL__N_131cdist_backward_kernel_cuda_implIdNS1_5distsIdE3oneEEEvPT_PKS6_S9_S9_S9_S6_lllllll.private_seg_size, 0
	.set _ZN2at6native12_GLOBAL__N_131cdist_backward_kernel_cuda_implIdNS1_5distsIdE3oneEEEvPT_PKS6_S9_S9_S9_S6_lllllll.uses_vcc, 1
	.set _ZN2at6native12_GLOBAL__N_131cdist_backward_kernel_cuda_implIdNS1_5distsIdE3oneEEEvPT_PKS6_S9_S9_S9_S6_lllllll.uses_flat_scratch, 0
	.set _ZN2at6native12_GLOBAL__N_131cdist_backward_kernel_cuda_implIdNS1_5distsIdE3oneEEEvPT_PKS6_S9_S9_S9_S6_lllllll.has_dyn_sized_stack, 0
	.set _ZN2at6native12_GLOBAL__N_131cdist_backward_kernel_cuda_implIdNS1_5distsIdE3oneEEEvPT_PKS6_S9_S9_S9_S6_lllllll.has_recursion, 0
	.set _ZN2at6native12_GLOBAL__N_131cdist_backward_kernel_cuda_implIdNS1_5distsIdE3oneEEEvPT_PKS6_S9_S9_S9_S6_lllllll.has_indirect_call, 0
	.section	.AMDGPU.csdata,"",@progbits
; Kernel info:
; codeLenInByte = 2248
; TotalNumSgprs: 48
; NumVgprs: 22
; ScratchSize: 0
; MemoryBound: 0
; FloatMode: 240
; IeeeMode: 1
; LDSByteSize: 0 bytes/workgroup (compile time only)
; SGPRBlocks: 5
; VGPRBlocks: 5
; NumSGPRsForWavesPerEU: 48
; NumVGPRsForWavesPerEU: 22
; Occupancy: 10
; WaveLimiterHint : 0
; COMPUTE_PGM_RSRC2:SCRATCH_EN: 0
; COMPUTE_PGM_RSRC2:USER_SGPR: 6
; COMPUTE_PGM_RSRC2:TRAP_HANDLER: 0
; COMPUTE_PGM_RSRC2:TGID_X_EN: 1
; COMPUTE_PGM_RSRC2:TGID_Y_EN: 1
; COMPUTE_PGM_RSRC2:TGID_Z_EN: 1
; COMPUTE_PGM_RSRC2:TIDIG_COMP_CNT: 1
	.section	.text._ZN2at6native12_GLOBAL__N_131cdist_backward_kernel_cuda_implIdNS1_5distsIdE6lt_twoEEEvPT_PKS6_S9_S9_S9_S6_lllllll,"axG",@progbits,_ZN2at6native12_GLOBAL__N_131cdist_backward_kernel_cuda_implIdNS1_5distsIdE6lt_twoEEEvPT_PKS6_S9_S9_S9_S6_lllllll,comdat
	.globl	_ZN2at6native12_GLOBAL__N_131cdist_backward_kernel_cuda_implIdNS1_5distsIdE6lt_twoEEEvPT_PKS6_S9_S9_S9_S6_lllllll ; -- Begin function _ZN2at6native12_GLOBAL__N_131cdist_backward_kernel_cuda_implIdNS1_5distsIdE6lt_twoEEEvPT_PKS6_S9_S9_S9_S6_lllllll
	.p2align	8
	.type	_ZN2at6native12_GLOBAL__N_131cdist_backward_kernel_cuda_implIdNS1_5distsIdE6lt_twoEEEvPT_PKS6_S9_S9_S9_S6_lllllll,@function
_ZN2at6native12_GLOBAL__N_131cdist_backward_kernel_cuda_implIdNS1_5distsIdE6lt_twoEEEvPT_PKS6_S9_S9_S9_S6_lllllll: ; @_ZN2at6native12_GLOBAL__N_131cdist_backward_kernel_cuda_implIdNS1_5distsIdE6lt_twoEEEvPT_PKS6_S9_S9_S9_S6_lllllll
; %bb.0:
	s_load_dwordx2 s[0:1], s[4:5], 0x70
	s_load_dwordx8 s[24:31], s[4:5], 0x40
	s_add_u32 s34, s4, 0x68
	s_addc_u32 s35, s5, 0
	s_waitcnt lgkmcnt(0)
	s_mul_i32 s0, s0, s7
	s_add_i32 s0, s0, s8
	s_lshr_b32 s2, s1, 16
	s_mul_i32 s0, s0, s2
	v_add_u32_e32 v4, s0, v1
	v_ashrrev_i32_e32 v5, 31, v4
	v_cmp_gt_i64_e32 vcc, s[26:27], v[4:5]
	s_and_saveexec_b64 s[2:3], vcc
	s_cbranch_execz .LBB32_14
; %bb.1:
	s_and_b32 s33, s1, 0xffff
	s_load_dwordx2 s[2:3], s[4:5], 0x60
	s_mul_i32 s6, s6, s33
	v_add_u32_e32 v2, s6, v0
	v_ashrrev_i32_e32 v3, 31, v2
	v_cmp_gt_i64_e32 vcc, s[24:25], v[2:3]
	s_and_b64 exec, exec, vcc
	s_cbranch_execz .LBB32_14
; %bb.2:
	v_or_b32_e32 v1, s29, v5
	v_mov_b32_e32 v0, 0
	v_cmp_ne_u64_e32 vcc, 0, v[0:1]
                                        ; implicit-def: $vgpr8_vgpr9
	s_and_saveexec_b64 s[0:1], vcc
	s_xor_b64 s[6:7], exec, s[0:1]
	s_cbranch_execz .LBB32_4
; %bb.3:
	s_ashr_i32 s8, s29, 31
	s_add_u32 s0, s28, s8
	s_mov_b32 s9, s8
	s_addc_u32 s1, s29, s8
	s_xor_b64 s[10:11], s[0:1], s[8:9]
	v_cvt_f32_u32_e32 v0, s10
	v_cvt_f32_u32_e32 v1, s11
	s_sub_u32 s9, 0, s10
	s_subb_u32 s12, 0, s11
	v_ashrrev_i32_e32 v8, 31, v5
	v_madmk_f32 v0, v1, 0x4f800000, v0
	v_rcp_f32_e32 v0, v0
	v_mul_f32_e32 v0, 0x5f7ffffc, v0
	v_mul_f32_e32 v1, 0x2f800000, v0
	v_trunc_f32_e32 v1, v1
	v_madmk_f32 v0, v1, 0xcf800000, v0
	v_cvt_u32_f32_e32 v1, v1
	v_cvt_u32_f32_e32 v0, v0
	v_readfirstlane_b32 s13, v1
	v_readfirstlane_b32 s0, v0
	s_mul_i32 s1, s9, s13
	s_mul_hi_u32 s15, s9, s0
	s_mul_i32 s14, s12, s0
	s_add_i32 s1, s15, s1
	s_add_i32 s1, s1, s14
	s_mul_i32 s16, s9, s0
	s_mul_i32 s15, s0, s1
	s_mul_hi_u32 s17, s0, s16
	s_mul_hi_u32 s14, s0, s1
	s_add_u32 s15, s17, s15
	s_addc_u32 s14, 0, s14
	s_mul_hi_u32 s18, s13, s16
	s_mul_i32 s16, s13, s16
	s_add_u32 s15, s15, s16
	s_mul_hi_u32 s17, s13, s1
	s_addc_u32 s14, s14, s18
	s_addc_u32 s15, s17, 0
	s_mul_i32 s1, s13, s1
	s_add_u32 s1, s14, s1
	s_addc_u32 s14, 0, s15
	s_add_u32 s15, s0, s1
	s_cselect_b64 s[0:1], -1, 0
	s_cmp_lg_u64 s[0:1], 0
	s_addc_u32 s13, s13, s14
	s_mul_i32 s0, s9, s13
	s_mul_hi_u32 s1, s9, s15
	s_add_i32 s0, s1, s0
	s_mul_i32 s12, s12, s15
	s_add_i32 s0, s0, s12
	s_mul_i32 s9, s9, s15
	s_mul_hi_u32 s12, s13, s9
	s_mul_i32 s14, s13, s9
	s_mul_i32 s17, s15, s0
	s_mul_hi_u32 s9, s15, s9
	s_mul_hi_u32 s16, s15, s0
	s_add_u32 s9, s9, s17
	s_addc_u32 s16, 0, s16
	s_add_u32 s9, s9, s14
	s_mul_hi_u32 s1, s13, s0
	s_addc_u32 s9, s16, s12
	s_addc_u32 s1, s1, 0
	s_mul_i32 s0, s13, s0
	s_add_u32 s0, s9, s0
	s_addc_u32 s9, 0, s1
	s_add_u32 s12, s15, s0
	s_cselect_b64 s[0:1], -1, 0
	s_cmp_lg_u64 s[0:1], 0
	v_add_co_u32_e32 v0, vcc, v4, v8
	s_addc_u32 s9, s13, s9
	v_xor_b32_e32 v9, v0, v8
	v_mad_u64_u32 v[0:1], s[0:1], v9, s9, 0
	v_mul_hi_u32 v7, v9, s12
	v_addc_co_u32_e32 v6, vcc, v5, v8, vcc
	v_xor_b32_e32 v10, v6, v8
	v_add_co_u32_e32 v11, vcc, v7, v0
	v_addc_co_u32_e32 v12, vcc, 0, v1, vcc
	v_mad_u64_u32 v[0:1], s[0:1], v10, s12, 0
	v_mad_u64_u32 v[6:7], s[0:1], v10, s9, 0
	v_add_co_u32_e32 v0, vcc, v11, v0
	v_addc_co_u32_e32 v0, vcc, v12, v1, vcc
	v_addc_co_u32_e32 v1, vcc, 0, v7, vcc
	v_add_co_u32_e32 v6, vcc, v0, v6
	v_addc_co_u32_e32 v7, vcc, 0, v1, vcc
	v_mul_lo_u32 v11, s11, v6
	v_mul_lo_u32 v12, s10, v7
	v_mad_u64_u32 v[0:1], s[0:1], s10, v6, 0
	v_add3_u32 v1, v1, v12, v11
	v_sub_u32_e32 v11, v10, v1
	v_mov_b32_e32 v12, s11
	v_sub_co_u32_e32 v0, vcc, v9, v0
	v_subb_co_u32_e64 v9, s[0:1], v11, v12, vcc
	v_subrev_co_u32_e64 v11, s[0:1], s10, v0
	v_subbrev_co_u32_e64 v9, s[0:1], 0, v9, s[0:1]
	v_cmp_le_u32_e64 s[0:1], s11, v9
	v_cndmask_b32_e64 v12, 0, -1, s[0:1]
	v_cmp_le_u32_e64 s[0:1], s10, v11
	v_cndmask_b32_e64 v11, 0, -1, s[0:1]
	v_cmp_eq_u32_e64 s[0:1], s11, v9
	v_cndmask_b32_e64 v9, v12, v11, s[0:1]
	v_add_co_u32_e64 v11, s[0:1], 2, v6
	v_subb_co_u32_e32 v1, vcc, v10, v1, vcc
	v_addc_co_u32_e64 v12, s[0:1], 0, v7, s[0:1]
	v_cmp_le_u32_e32 vcc, s11, v1
	v_add_co_u32_e64 v13, s[0:1], 1, v6
	v_cndmask_b32_e64 v10, 0, -1, vcc
	v_cmp_le_u32_e32 vcc, s10, v0
	v_addc_co_u32_e64 v14, s[0:1], 0, v7, s[0:1]
	v_cndmask_b32_e64 v0, 0, -1, vcc
	v_cmp_eq_u32_e32 vcc, s11, v1
	v_cmp_ne_u32_e64 s[0:1], 0, v9
	v_cndmask_b32_e32 v0, v10, v0, vcc
	v_cmp_ne_u32_e32 vcc, 0, v0
	v_cndmask_b32_e64 v1, v13, v11, s[0:1]
	v_cndmask_b32_e64 v9, v14, v12, s[0:1]
	v_cndmask_b32_e32 v1, v6, v1, vcc
	v_xor_b32_e32 v6, s8, v8
	v_cndmask_b32_e32 v0, v7, v9, vcc
	v_xor_b32_e32 v1, v1, v6
	v_xor_b32_e32 v0, v0, v6
	v_sub_co_u32_e32 v8, vcc, v1, v6
	v_subb_co_u32_e32 v9, vcc, v0, v6, vcc
.LBB32_4:
	s_andn2_saveexec_b64 s[0:1], s[6:7]
	s_cbranch_execz .LBB32_6
; %bb.5:
	v_cvt_f32_u32_e32 v0, s28
	s_sub_i32 s6, 0, s28
	v_mov_b32_e32 v9, 0
	v_rcp_iflag_f32_e32 v0, v0
	v_mul_f32_e32 v0, 0x4f7ffffe, v0
	v_cvt_u32_f32_e32 v0, v0
	v_mul_lo_u32 v1, s6, v0
	v_mul_hi_u32 v1, v0, v1
	v_add_u32_e32 v0, v0, v1
	v_mul_hi_u32 v0, v4, v0
	v_mul_lo_u32 v1, v0, s28
	v_add_u32_e32 v6, 1, v0
	v_sub_u32_e32 v1, v4, v1
	v_subrev_u32_e32 v7, s28, v1
	v_cmp_le_u32_e32 vcc, s28, v1
	v_cndmask_b32_e32 v1, v1, v7, vcc
	v_cndmask_b32_e32 v0, v0, v6, vcc
	v_add_u32_e32 v6, 1, v0
	v_cmp_le_u32_e32 vcc, s28, v1
	v_cndmask_b32_e32 v8, v0, v6, vcc
.LBB32_6:
	s_or_b64 exec, exec, s[0:1]
	v_mul_lo_u32 v0, v9, s28
	v_mul_lo_u32 v1, v8, s29
	v_mad_u64_u32 v[6:7], s[0:1], v8, s28, 0
	s_load_dwordx16 s[8:23], s[4:5], 0x0
                                        ; implicit-def: $vgpr9_vgpr10
	v_add3_u32 v0, v7, v1, v0
	v_sub_co_u32_e32 v38, vcc, v4, v6
	v_subb_co_u32_e32 v39, vcc, v5, v0, vcc
	s_waitcnt lgkmcnt(0)
	v_or_b32_e32 v1, s23, v39
	v_mov_b32_e32 v0, 0
	v_cmp_ne_u64_e32 vcc, 0, v[0:1]
	s_and_saveexec_b64 s[0:1], vcc
	s_xor_b64 s[4:5], exec, s[0:1]
	s_cbranch_execz .LBB32_8
; %bb.7:
	s_ashr_i32 s6, s23, 31
	s_add_u32 s0, s22, s6
	s_mov_b32 s7, s6
	s_addc_u32 s1, s23, s6
	s_xor_b64 s[26:27], s[0:1], s[6:7]
	v_cvt_f32_u32_e32 v0, s26
	v_cvt_f32_u32_e32 v1, s27
	s_sub_u32 s7, 0, s26
	s_subb_u32 s28, 0, s27
	v_ashrrev_i32_e32 v7, 31, v39
	v_madmk_f32 v0, v1, 0x4f800000, v0
	v_rcp_f32_e32 v0, v0
	v_mul_f32_e32 v0, 0x5f7ffffc, v0
	v_mul_f32_e32 v1, 0x2f800000, v0
	v_trunc_f32_e32 v1, v1
	v_madmk_f32 v0, v1, 0xcf800000, v0
	v_cvt_u32_f32_e32 v1, v1
	v_cvt_u32_f32_e32 v0, v0
	v_readfirstlane_b32 s29, v1
	v_readfirstlane_b32 s0, v0
	s_mul_i32 s1, s7, s29
	s_mul_hi_u32 s37, s7, s0
	s_mul_i32 s36, s28, s0
	s_add_i32 s1, s37, s1
	s_add_i32 s1, s1, s36
	s_mul_i32 s38, s7, s0
	s_mul_i32 s37, s0, s1
	s_mul_hi_u32 s39, s0, s38
	s_mul_hi_u32 s36, s0, s1
	s_add_u32 s37, s39, s37
	s_addc_u32 s36, 0, s36
	s_mul_hi_u32 s40, s29, s38
	s_mul_i32 s38, s29, s38
	s_add_u32 s37, s37, s38
	s_mul_hi_u32 s39, s29, s1
	s_addc_u32 s36, s36, s40
	s_addc_u32 s37, s39, 0
	s_mul_i32 s1, s29, s1
	s_add_u32 s1, s36, s1
	s_addc_u32 s36, 0, s37
	s_add_u32 s37, s0, s1
	s_cselect_b64 s[0:1], -1, 0
	s_cmp_lg_u64 s[0:1], 0
	s_addc_u32 s29, s29, s36
	s_mul_i32 s0, s7, s29
	s_mul_hi_u32 s1, s7, s37
	s_add_i32 s0, s1, s0
	s_mul_i32 s28, s28, s37
	s_add_i32 s0, s0, s28
	s_mul_i32 s7, s7, s37
	s_mul_hi_u32 s28, s29, s7
	s_mul_i32 s36, s29, s7
	s_mul_i32 s39, s37, s0
	s_mul_hi_u32 s7, s37, s7
	s_mul_hi_u32 s38, s37, s0
	s_add_u32 s7, s7, s39
	s_addc_u32 s38, 0, s38
	s_add_u32 s7, s7, s36
	s_mul_hi_u32 s1, s29, s0
	s_addc_u32 s7, s38, s28
	s_addc_u32 s1, s1, 0
	s_mul_i32 s0, s29, s0
	s_add_u32 s0, s7, s0
	s_addc_u32 s7, 0, s1
	s_add_u32 s28, s37, s0
	s_cselect_b64 s[0:1], -1, 0
	s_cmp_lg_u64 s[0:1], 0
	v_add_co_u32_e32 v0, vcc, v38, v7
	s_addc_u32 s7, s29, s7
	v_xor_b32_e32 v11, v0, v7
	v_mad_u64_u32 v[0:1], s[0:1], v11, s7, 0
	v_mul_hi_u32 v10, v11, s28
	v_addc_co_u32_e32 v9, vcc, v39, v7, vcc
	v_xor_b32_e32 v12, v9, v7
	v_add_co_u32_e32 v13, vcc, v10, v0
	v_addc_co_u32_e32 v14, vcc, 0, v1, vcc
	v_mad_u64_u32 v[0:1], s[0:1], v12, s28, 0
	v_mad_u64_u32 v[9:10], s[0:1], v12, s7, 0
	v_add_co_u32_e32 v0, vcc, v13, v0
	v_addc_co_u32_e32 v0, vcc, v14, v1, vcc
	v_addc_co_u32_e32 v1, vcc, 0, v10, vcc
	v_add_co_u32_e32 v9, vcc, v0, v9
	v_addc_co_u32_e32 v10, vcc, 0, v1, vcc
	v_mul_lo_u32 v13, s27, v9
	v_mul_lo_u32 v14, s26, v10
	v_mad_u64_u32 v[0:1], s[0:1], s26, v9, 0
	v_xor_b32_e32 v7, s6, v7
	v_add3_u32 v1, v1, v14, v13
	v_sub_u32_e32 v13, v12, v1
	v_mov_b32_e32 v14, s27
	v_sub_co_u32_e32 v0, vcc, v11, v0
	v_subb_co_u32_e64 v11, s[0:1], v13, v14, vcc
	v_subrev_co_u32_e64 v13, s[0:1], s26, v0
	v_subbrev_co_u32_e64 v11, s[0:1], 0, v11, s[0:1]
	v_cmp_le_u32_e64 s[0:1], s27, v11
	v_cndmask_b32_e64 v14, 0, -1, s[0:1]
	v_cmp_le_u32_e64 s[0:1], s26, v13
	v_cndmask_b32_e64 v13, 0, -1, s[0:1]
	v_cmp_eq_u32_e64 s[0:1], s27, v11
	v_cndmask_b32_e64 v11, v14, v13, s[0:1]
	v_add_co_u32_e64 v13, s[0:1], 2, v9
	v_subb_co_u32_e32 v1, vcc, v12, v1, vcc
	v_addc_co_u32_e64 v14, s[0:1], 0, v10, s[0:1]
	v_cmp_le_u32_e32 vcc, s27, v1
	v_add_co_u32_e64 v15, s[0:1], 1, v9
	v_cndmask_b32_e64 v12, 0, -1, vcc
	v_cmp_le_u32_e32 vcc, s26, v0
	v_addc_co_u32_e64 v16, s[0:1], 0, v10, s[0:1]
	v_cndmask_b32_e64 v0, 0, -1, vcc
	v_cmp_eq_u32_e32 vcc, s27, v1
	v_cmp_ne_u32_e64 s[0:1], 0, v11
	v_cndmask_b32_e32 v0, v12, v0, vcc
	v_cmp_ne_u32_e32 vcc, 0, v0
	v_cndmask_b32_e64 v1, v15, v13, s[0:1]
	v_cndmask_b32_e64 v11, v16, v14, s[0:1]
	v_cndmask_b32_e32 v1, v9, v1, vcc
	v_cndmask_b32_e32 v0, v10, v11, vcc
	v_xor_b32_e32 v1, v1, v7
	v_xor_b32_e32 v0, v0, v7
	v_sub_co_u32_e32 v9, vcc, v1, v7
	v_subb_co_u32_e32 v10, vcc, v0, v7, vcc
.LBB32_8:
	s_or_saveexec_b64 s[0:1], s[4:5]
	s_load_dword s4, s[34:35], 0x0
	s_xor_b64 exec, exec, s[0:1]
	s_cbranch_execz .LBB32_10
; %bb.9:
	v_cvt_f32_u32_e32 v0, s22
	s_sub_i32 s5, 0, s22
	v_mov_b32_e32 v10, 0
	v_rcp_iflag_f32_e32 v0, v0
	v_mul_f32_e32 v0, 0x4f7ffffe, v0
	v_cvt_u32_f32_e32 v0, v0
	v_mul_lo_u32 v1, s5, v0
	v_mul_hi_u32 v1, v0, v1
	v_add_u32_e32 v0, v0, v1
	v_mul_hi_u32 v0, v38, v0
	v_mul_lo_u32 v1, v0, s22
	v_add_u32_e32 v7, 1, v0
	v_sub_u32_e32 v1, v38, v1
	v_subrev_u32_e32 v9, s22, v1
	v_cmp_le_u32_e32 vcc, s22, v1
	v_cndmask_b32_e32 v1, v1, v9, vcc
	v_cndmask_b32_e32 v0, v0, v7, vcc
	v_add_u32_e32 v7, 1, v0
	v_cmp_le_u32_e32 vcc, s22, v1
	v_cndmask_b32_e32 v9, v0, v7, vcc
.LBB32_10:
	s_or_b64 exec, exec, s[0:1]
	v_lshlrev_b64 v[17:18], 3, v[4:5]
	v_mov_b32_e32 v1, s17
	v_add_co_u32_e32 v0, vcc, s16, v17
	v_addc_co_u32_e32 v1, vcc, v1, v18, vcc
	global_load_dwordx2 v[11:12], v[0:1], off
	v_add_f64 v[0:1], s[18:19], -1.0
	v_mov_b32_e32 v37, 0x3ff00000
	s_mov_b32 s16, 0x55555555
	s_mov_b32 s17, 0x3fe55555
	;; [unrolled: 1-line block ×26, first 2 shown]
	s_movk_i32 s82, 0x204
	s_mov_b32 s54, 0x652b82fe
	s_mov_b32 s55, 0x3ff71547
	v_mul_lo_u32 v44, v10, s22
	v_mul_lo_u32 v45, v9, s23
	s_mov_b32 s23, 0xbfe62e42
	s_mov_b32 s57, 0xbc7abc9e
	;; [unrolled: 1-line block ×4, first 2 shown]
	v_ashrrev_i32_e32 v43, 31, v8
	v_mul_lo_u32 v42, v8, s31
	s_mov_b32 s59, 0x3e5ade15
	s_mov_b32 s60, 0x623fde64
	;; [unrolled: 1-line block ×11, first 2 shown]
	v_mov_b32_e32 v55, s11
	v_mul_lo_u32 v58, v43, s2
	s_mov_b32 s70, 0x555502a1
	s_mov_b32 s71, 0x3fa55555
	v_mul_lo_u32 v52, s24, v6
	v_mov_b32_e32 v51, 0
	v_mov_b32_e32 v48, s9
	s_mov_b32 s72, 0x55555511
	s_mov_b32 s73, 0x3fc55555
	;; [unrolled: 1-line block ×4, first 2 shown]
	v_mul_lo_u32 v56, v10, s24
	v_mul_lo_u32 v57, v9, s25
	v_mad_u64_u32 v[53:54], s[0:1], v9, s24, 0
	s_mov_b32 s76, 0
	s_mov_b32 s78, 0
	v_add3_u32 v54, v54, v57, v56
	s_mov_b32 s80, 0
	s_mov_b32 s77, 0x7ff00000
	;; [unrolled: 1-line block ×4, first 2 shown]
	v_mov_b32_e32 v6, 0x7ff00000
	v_lshlrev_b64 v[2:3], 3, v[2:3]
	v_cmp_lt_f64_e64 s[18:19], s[18:19], 1.0
	s_waitcnt vmcnt(0)
	v_cmp_neq_f64_e32 vcc, 1.0, v[11:12]
	v_cndmask_b32_e32 v14, v37, v1, vcc
	v_cndmask_b32_e32 v13, 0, v0, vcc
	v_cmp_neq_f64_e32 vcc, 0, v[13:14]
	v_cndmask_b32_e32 v16, v37, v12, vcc
	v_cndmask_b32_e32 v15, 0, v11, vcc
	v_frexp_mant_f64_e64 v[4:5], |v[15:16]|
	v_cmp_gt_f64_e32 vcc, s[16:17], v[4:5]
	v_cndmask_b32_e64 v7, 0, 1, vcc
	v_ldexp_f64 v[4:5], v[4:5], v7
	v_frexp_exp_i32_f64_e32 v7, v[15:16]
	v_add_f64 v[19:20], v[4:5], 1.0
	v_add_f64 v[25:26], v[4:5], -1.0
	v_subbrev_co_u32_e32 v7, vcc, 0, v7, vcc
	v_rcp_f64_e32 v[21:22], v[19:20]
	v_add_f64 v[27:28], v[19:20], -1.0
	v_add_f64 v[4:5], v[4:5], -v[27:28]
	v_fma_f64 v[23:24], -v[19:20], v[21:22], 1.0
	v_fma_f64 v[21:22], v[23:24], v[21:22], v[21:22]
	v_fma_f64 v[23:24], -v[19:20], v[21:22], 1.0
	v_fma_f64 v[21:22], v[23:24], v[21:22], v[21:22]
	v_mul_f64 v[23:24], v[25:26], v[21:22]
	v_mul_f64 v[29:30], v[19:20], v[23:24]
	v_fma_f64 v[19:20], v[23:24], v[19:20], -v[29:30]
	v_fma_f64 v[4:5], v[23:24], v[4:5], v[19:20]
	v_add_f64 v[19:20], v[29:30], v[4:5]
	v_add_f64 v[27:28], v[25:26], -v[19:20]
	v_add_f64 v[29:30], v[19:20], -v[29:30]
	;; [unrolled: 1-line block ×5, first 2 shown]
	v_add_f64 v[4:5], v[4:5], v[19:20]
	v_add_f64 v[4:5], v[27:28], v[4:5]
	v_mul_f64 v[4:5], v[21:22], v[4:5]
	v_add_f64 v[21:22], v[23:24], v[4:5]
	v_add_f64 v[19:20], v[21:22], -v[23:24]
	v_mul_f64 v[23:24], v[21:22], v[21:22]
	v_add_f64 v[19:20], v[4:5], -v[19:20]
	v_fma_f64 v[4:5], v[21:22], v[21:22], -v[23:24]
	v_add_f64 v[25:26], v[19:20], v[19:20]
	v_fma_f64 v[25:26], v[21:22], v[25:26], v[4:5]
	v_mov_b32_e32 v4, 0x968915a9
	v_mov_b32_e32 v5, 0x3fba6564
	v_add_f64 v[27:28], v[23:24], v[25:26]
	v_fma_f64 v[29:30], v[27:28], s[26:27], v[4:5]
	v_add_f64 v[23:24], v[27:28], -v[23:24]
	v_mul_f64 v[35:36], v[21:22], v[27:28]
	v_fma_f64 v[29:30], v[27:28], v[29:30], s[28:29]
	v_add_f64 v[23:24], v[25:26], -v[23:24]
	v_fma_f64 v[29:30], v[27:28], v[29:30], s[34:35]
	v_fma_f64 v[29:30], v[27:28], v[29:30], s[36:37]
	;; [unrolled: 1-line block ×6, first 2 shown]
	v_mul_f64 v[31:32], v[27:28], v[29:30]
	v_fma_f64 v[25:26], v[27:28], v[29:30], -v[31:32]
	v_fma_f64 v[25:26], v[23:24], v[29:30], v[25:26]
	v_add_f64 v[29:30], v[31:32], v[25:26]
	v_add_f64 v[33:34], v[29:30], s[16:17]
	v_add_f64 v[31:32], v[29:30], -v[31:32]
	v_add_f64 v[40:41], v[33:34], s[46:47]
	v_add_f64 v[25:26], v[25:26], -v[31:32]
	v_fma_f64 v[31:32], v[27:28], v[21:22], -v[35:36]
	v_add_f64 v[29:30], v[29:30], -v[40:41]
	v_add_f64 v[25:26], v[25:26], s[48:49]
	v_fma_f64 v[27:28], v[27:28], v[19:20], v[31:32]
	v_ldexp_f64 v[19:20], v[19:20], 1
	v_mul_lo_u32 v41, v8, s3
	v_mov_b32_e32 v40, 0x7ff80000
	v_add_f64 v[25:26], v[25:26], v[29:30]
	v_fma_f64 v[27:28], v[23:24], v[21:22], v[27:28]
	v_ldexp_f64 v[21:22], v[21:22], 1
	v_add_f64 v[29:30], v[33:34], v[25:26]
	v_add_f64 v[31:32], v[35:36], v[27:28]
	v_add_f64 v[33:34], v[33:34], -v[29:30]
	v_mul_f64 v[23:24], v[31:32], v[29:30]
	v_add_f64 v[35:36], v[31:32], -v[35:36]
	v_add_f64 v[25:26], v[25:26], v[33:34]
	v_fma_f64 v[33:34], v[31:32], v[29:30], -v[23:24]
	v_add_f64 v[27:28], v[27:28], -v[35:36]
	v_fma_f64 v[25:26], v[31:32], v[25:26], v[33:34]
	v_cvt_f64_i32_e32 v[31:32], v7
	v_mov_b32_e32 v7, 0xfca7ab0c
	v_mul_f64 v[33:34], v[31:32], s[50:51]
	v_fma_f64 v[25:26], v[27:28], v[29:30], v[25:26]
	v_add_f64 v[27:28], v[23:24], v[25:26]
	v_add_f64 v[29:30], v[21:22], v[27:28]
	v_add_f64 v[23:24], v[27:28], -v[23:24]
	v_add_f64 v[21:22], v[29:30], -v[21:22]
	;; [unrolled: 1-line block ×3, first 2 shown]
	v_fma_f64 v[25:26], v[31:32], s[50:51], -v[33:34]
	v_add_f64 v[21:22], v[27:28], -v[21:22]
	v_add_f64 v[19:20], v[19:20], v[23:24]
	v_fma_f64 v[23:24], v[31:32], s[52:53], v[25:26]
	v_add_f64 v[19:20], v[19:20], v[21:22]
	v_add_f64 v[21:22], v[33:34], v[23:24]
	;; [unrolled: 1-line block ×3, first 2 shown]
	v_add_f64 v[33:34], v[21:22], -v[33:34]
	v_add_f64 v[27:28], v[21:22], v[25:26]
	v_add_f64 v[29:30], v[25:26], -v[29:30]
	v_add_f64 v[23:24], v[23:24], -v[33:34]
	v_mad_u64_u32 v[33:34], s[0:1], v8, s30, 0
	v_add_f64 v[31:32], v[27:28], -v[21:22]
	v_add_f64 v[19:20], v[19:20], -v[29:30]
	;; [unrolled: 1-line block ×4, first 2 shown]
	v_add_f64 v[29:30], v[23:24], v[19:20]
	v_add_f64 v[21:22], v[21:22], -v[35:36]
	v_mad_u64_u32 v[35:36], s[0:1], v9, s22, 0
	s_mov_b32 s22, s50
	v_add3_u32 v36, v36, v45, v44
	v_add_f64 v[21:22], v[25:26], v[21:22]
	v_add_f64 v[25:26], v[29:30], -v[23:24]
	v_add_f64 v[21:22], v[29:30], v[21:22]
	v_add_f64 v[29:30], v[29:30], -v[25:26]
	v_add_f64 v[19:20], v[19:20], -v[25:26]
	v_add_f64 v[31:32], v[27:28], v[21:22]
	v_add_f64 v[23:24], v[23:24], -v[29:30]
	v_mad_u64_u32 v[29:30], s[0:1], v8, s2, 0
	v_mov_b32_e32 v8, 0x3e928af3
	s_lshl_b64 s[0:1], s[24:25], 3
	v_add3_u32 v30, v30, v41, v58
	v_lshlrev_b64 v[29:30], 3, v[29:30]
	v_add_f64 v[25:26], v[31:32], -v[27:28]
	v_add_f64 v[19:20], v[19:20], v[23:24]
	v_add_f64 v[21:22], v[21:22], -v[25:26]
	v_add_f64 v[19:20], v[19:20], v[21:22]
	v_add_f64 v[23:24], v[31:32], v[19:20]
	v_add_f64 v[25:26], v[23:24], -v[31:32]
	v_mul_f64 v[21:22], v[13:14], v[23:24]
	v_add_f64 v[19:20], v[19:20], -v[25:26]
	v_fma_f64 v[23:24], v[13:14], v[23:24], -v[21:22]
	v_cmp_class_f64_e64 vcc, v[21:22], s82
	v_fma_f64 v[19:20], v[13:14], v[19:20], v[23:24]
	v_add_f64 v[23:24], v[21:22], v[19:20]
	v_cndmask_b32_e32 v26, v24, v22, vcc
	v_cndmask_b32_e32 v25, v23, v21, vcc
	v_mul_f64 v[27:28], v[25:26], s[54:55]
	v_add_co_u32_e32 v17, vcc, s10, v17
	v_addc_co_u32_e32 v18, vcc, v55, v18, vcc
	v_mul_lo_u32 v55, v43, s30
	global_load_dwordx2 v[17:18], v[17:18], off
	v_add_f64 v[21:22], v[23:24], -v[21:22]
	v_rndne_f64_e32 v[27:28], v[27:28]
	v_add3_u32 v34, v34, v42, v55
	v_sub_co_u32_e32 v42, vcc, v38, v35
	v_subb_co_u32_e32 v45, vcc, v39, v36, vcc
	v_lshlrev_b64 v[33:34], 3, v[33:34]
	v_mad_u64_u32 v[9:10], s[2:3], v42, s20, v[9:10]
	v_fma_f64 v[31:32], v[27:28], s[22:23], v[25:26]
	v_mul_lo_u32 v41, v42, s21
	v_mad_u64_u32 v[38:39], s[2:3], v42, s24, 0
	v_add_f64 v[21:22], v[19:20], -v[21:22]
	s_waitcnt lgkmcnt(0)
	s_mul_i32 s10, s4, s33
	v_mul_lo_u32 v42, v42, s25
	s_ashr_i32 s11, s10, 31
	v_fma_f64 v[31:32], v[27:28], s[56:57], v[31:32]
	s_lshl_b64 s[10:11], s[10:11], 3
	v_fma_f64 v[46:47], v[31:32], s[58:59], v[7:8]
	v_fma_f64 v[49:50], v[31:32], v[46:47], s[60:61]
	v_mov_b32_e32 v47, s13
	v_mov_b32_e32 v46, s15
	s_brev_b32 s15, -2
	v_fma_f64 v[49:50], v[31:32], v[49:50], s[62:63]
	v_fma_f64 v[49:50], v[31:32], v[49:50], s[64:65]
	v_fma_f64 v[49:50], v[31:32], v[49:50], s[66:67]
	v_fma_f64 v[43:44], v[31:32], v[49:50], s[68:69]
	v_ashrrev_i64 v[49:50], 29, v[51:52]
	v_fma_f64 v[35:36], v[31:32], v[43:44], s[70:71]
	v_add_co_u32_e32 v43, vcc, s8, v49
	v_addc_co_u32_e32 v44, vcc, v48, v50, vcc
	v_add_co_u32_e32 v48, vcc, s12, v33
	v_addc_co_u32_e32 v47, vcc, v47, v34, vcc
	v_fma_f64 v[33:34], v[31:32], v[35:36], s[72:73]
	v_lshlrev_b64 v[35:36], 3, v[53:54]
	v_add_co_u32_e32 v51, vcc, s14, v29
	v_addc_co_u32_e32 v46, vcc, v46, v30, vcc
	v_add_co_u32_e32 v29, vcc, v48, v35
	v_fma_f64 v[33:34], v[31:32], v[33:34], s[74:75]
	v_addc_co_u32_e32 v30, vcc, v47, v36, vcc
	v_mul_lo_u32 v47, v9, s25
	v_mul_lo_u32 v50, v45, s20
	v_mov_b32_e32 v49, s1
	v_add_co_u32_e64 v19, s[4:5], v29, v2
	v_fma_f64 v[33:34], v[31:32], v[33:34], 1.0
	v_add3_u32 v41, v50, v10, v41
	v_addc_co_u32_e64 v20, s[4:5], v30, v3, s[4:5]
	v_cmp_lt_f64_e64 s[12:13], |v[15:16]|, 1.0
	v_mul_lo_u32 v45, v45, s24
	s_mov_b64 s[8:9], 0
	v_fma_f64 v[31:32], v[31:32], v[33:34], 1.0
	v_mad_u64_u32 v[33:34], s[2:3], v9, s24, 0
	v_cvt_i32_f64_e32 v9, v[27:28]
	v_mul_f64 v[27:28], v[13:14], 0.5
	v_cmp_ngt_f64_e64 s[2:3], s[80:81], v[25:26]
	v_add3_u32 v39, v39, v42, v45
	v_ldexp_f64 v[23:24], v[31:32], v9
	v_add_co_u32_e32 v9, vcc, s0, v29
	v_addc_co_u32_e32 v10, vcc, v30, v49, vcc
	v_cmp_neq_f64_e64 vcc, |v[25:26]|, s[76:77]
	v_cmp_nlt_f64_e64 s[0:1], s[78:79], v[25:26]
	v_trunc_f64_e32 v[31:32], v[13:14]
	v_trunc_f64_e32 v[35:36], v[27:28]
	v_mul_lo_u32 v25, v41, s24
	v_cndmask_b32_e32 v22, 0, v22, vcc
	v_cndmask_b32_e64 v24, v6, v24, s[0:1]
	v_cndmask_b32_e32 v21, 0, v21, vcc
	s_and_b64 vcc, s[2:3], s[0:1]
	v_cndmask_b32_e64 v24, 0, v24, s[2:3]
	v_cndmask_b32_e32 v23, 0, v23, vcc
	v_fma_f64 v[21:22], v[23:24], v[21:22], v[23:24]
	v_cmp_class_f64_e64 vcc, v[23:24], s82
	v_cmp_eq_f64_e64 s[4:5], v[31:32], v[13:14]
	v_cmp_neq_f64_e64 s[6:7], v[35:36], v[27:28]
	v_cmp_gt_f64_e64 s[0:1], 0, v[13:14]
	v_cmp_neq_f64_e64 s[2:3], v[13:14], |v[13:14]|
	v_add3_u32 v34, v34, v47, v25
	v_cndmask_b32_e32 v21, v21, v23, vcc
	v_cndmask_b32_e32 v22, v22, v24, vcc
	v_cmp_gt_f64_e32 vcc, 0, v[15:16]
	v_cndmask_b32_e64 v26, v6, 0, s[0:1]
	s_and_b64 s[0:1], s[4:5], s[6:7]
	v_cndmask_b32_e64 v27, v37, v16, s[0:1]
	v_bfi_b32 v22, s15, v22, v27
	s_xor_b64 s[2:3], s[2:3], s[12:13]
	v_cndmask_b32_e64 v23, v40, v22, s[4:5]
	v_cndmask_b32_e64 v24, 0, v21, s[4:5]
	;; [unrolled: 1-line block ×3, first 2 shown]
	v_cmp_neq_f64_e64 s[2:3], |v[15:16]|, 1.0
	v_cndmask_b32_e32 v24, v21, v24, vcc
	v_cndmask_b32_e32 v21, v22, v23, vcc
	v_cmp_class_f64_e64 vcc, v[13:14], s82
	v_cndmask_b32_e64 v28, 0, v16, s[0:1]
	v_cmp_class_f64_e64 s[0:1], v[15:16], s82
	v_bfi_b32 v26, s15, v26, v28
	v_cndmask_b32_e64 v27, v37, v27, s[2:3]
	v_cndmask_b32_e32 v23, v21, v27, vcc
	v_lshlrev_b64 v[21:22], 3, v[38:39]
	v_add_co_u32_e64 v31, s[2:3], v51, v21
	v_cndmask_b32_e64 v21, v23, v26, s[0:1]
	s_or_b64 s[0:1], s[0:1], vcc
	v_cmp_o_f64_e32 vcc, v[15:16], v[13:14]
	v_addc_co_u32_e64 v32, s[2:3], v46, v22, s[2:3]
	v_cndmask_b32_e64 v22, v24, 0, s[0:1]
	v_cmp_eq_f64_e64 s[0:1], 0, v[11:12]
	v_lshlrev_b64 v[13:14], 3, v[33:34]
	v_add_co_u32_e64 v33, s[2:3], v43, v13
	v_addc_co_u32_e64 v34, s[2:3], v44, v14, s[2:3]
	v_cndmask_b32_e32 v11, 0, v22, vcc
	v_cndmask_b32_e32 v12, v40, v21, vcc
	s_branch .LBB32_12
.LBB32_11:                              ;   in Loop: Header=BB32_12 Depth=1
	s_or_b64 exec, exec, s[12:13]
	v_add_co_u32_e32 v13, vcc, v33, v2
	v_addc_co_u32_e32 v14, vcc, v34, v3, vcc
	v_mov_b32_e32 v21, s11
	v_add_co_u32_e32 v19, vcc, s10, v19
	v_addc_co_u32_e32 v20, vcc, v20, v21, vcc
	v_cmp_ge_u64_e32 vcc, v[19:20], v[9:10]
	global_store_dwordx2 v[13:14], v[15:16], off
	s_or_b64 s[8:9], vcc, s[8:9]
	v_add_co_u32_e32 v2, vcc, s10, v2
	v_addc_co_u32_e32 v3, vcc, v3, v21, vcc
	s_andn2_b64 exec, exec, s[8:9]
	s_cbranch_execz .LBB32_14
.LBB32_12:                              ; =>This Inner Loop Header: Depth=1
	v_add_co_u32_e32 v13, vcc, v31, v2
	v_addc_co_u32_e32 v14, vcc, v32, v3, vcc
	v_add_co_u32_e32 v15, vcc, v29, v2
	v_addc_co_u32_e32 v16, vcc, v30, v3, vcc
	global_load_dwordx2 v[15:16], v[15:16], off
	s_nop 0
	global_load_dwordx2 v[13:14], v[13:14], off
	s_waitcnt vmcnt(0)
	v_add_f64 v[13:14], v[15:16], -v[13:14]
	v_mov_b32_e32 v15, 0
	v_mov_b32_e32 v16, 0
	v_cmp_eq_f64_e32 vcc, 0, v[13:14]
	s_and_b64 s[2:3], s[18:19], vcc
	s_nor_b64 s[2:3], s[0:1], s[2:3]
	s_and_saveexec_b64 s[12:13], s[2:3]
	s_cbranch_execz .LBB32_11
; %bb.13:                               ;   in Loop: Header=BB32_12 Depth=1
	v_cmp_neq_f64_e64 vcc, |v[13:14]|, 1.0
	s_mov_b32 s46, s16
	s_mov_b32 s22, s50
	;; [unrolled: 1-line block ×3, first 2 shown]
	v_cndmask_b32_e32 v16, v37, v1, vcc
	v_cndmask_b32_e32 v15, 0, v0, vcc
	v_cmp_neq_f64_e32 vcc, 0, v[15:16]
	v_cmp_neq_f64_e64 s[14:15], v[15:16], |v[15:16]|
	v_cmp_gt_f64_e64 s[6:7], 0, v[15:16]
	v_cndmask_b32_e32 v22, v37, v14, vcc
	v_cndmask_b32_e32 v21, 0, v13, vcc
	v_frexp_mant_f64_e64 v[23:24], |v[21:22]|
	v_cmp_lt_f64_e64 s[20:21], |v[21:22]|, 1.0
	v_cmp_eq_f64_e64 s[24:25], |v[21:22]|, 0
	v_cmp_gt_f64_e32 vcc, s[16:17], v[23:24]
	s_xor_b64 s[6:7], s[6:7], s[24:25]
	v_cndmask_b32_e64 v25, 0, 1, vcc
	v_ldexp_f64 v[23:24], v[23:24], v25
	v_add_f64 v[25:26], v[23:24], 1.0
	v_add_f64 v[38:39], v[23:24], -1.0
	v_rcp_f64_e32 v[27:28], v[25:26]
	v_add_f64 v[41:42], v[25:26], -1.0
	v_add_f64 v[23:24], v[23:24], -v[41:42]
	v_fma_f64 v[35:36], -v[25:26], v[27:28], 1.0
	v_fma_f64 v[27:28], v[35:36], v[27:28], v[27:28]
	v_fma_f64 v[35:36], -v[25:26], v[27:28], 1.0
	v_fma_f64 v[27:28], v[35:36], v[27:28], v[27:28]
	v_mul_f64 v[35:36], v[38:39], v[27:28]
	v_mul_f64 v[43:44], v[25:26], v[35:36]
	v_fma_f64 v[25:26], v[35:36], v[25:26], -v[43:44]
	v_fma_f64 v[23:24], v[35:36], v[23:24], v[25:26]
	v_add_f64 v[25:26], v[43:44], v[23:24]
	v_add_f64 v[41:42], v[38:39], -v[25:26]
	v_add_f64 v[43:44], v[25:26], -v[43:44]
	v_add_f64 v[38:39], v[38:39], -v[41:42]
	v_add_f64 v[23:24], v[43:44], -v[23:24]
	v_add_f64 v[25:26], v[38:39], -v[25:26]
	v_add_f64 v[23:24], v[23:24], v[25:26]
	v_add_f64 v[23:24], v[41:42], v[23:24]
	v_mul_f64 v[23:24], v[27:28], v[23:24]
	v_add_f64 v[25:26], v[35:36], v[23:24]
	v_add_f64 v[27:28], v[25:26], -v[35:36]
	v_mul_f64 v[35:36], v[25:26], v[25:26]
	v_add_f64 v[23:24], v[23:24], -v[27:28]
	v_fma_f64 v[27:28], v[25:26], v[25:26], -v[35:36]
	v_add_f64 v[38:39], v[23:24], v[23:24]
	v_fma_f64 v[27:28], v[25:26], v[38:39], v[27:28]
	v_add_f64 v[38:39], v[35:36], v[27:28]
	v_fma_f64 v[41:42], v[38:39], s[26:27], v[4:5]
	v_add_f64 v[35:36], v[38:39], -v[35:36]
	v_mul_f64 v[47:48], v[25:26], v[38:39]
	v_fma_f64 v[41:42], v[38:39], v[41:42], s[28:29]
	v_add_f64 v[27:28], v[27:28], -v[35:36]
	v_fma_f64 v[41:42], v[38:39], v[41:42], s[34:35]
	v_fma_f64 v[41:42], v[38:39], v[41:42], s[36:37]
	;; [unrolled: 1-line block ×6, first 2 shown]
	v_mul_f64 v[43:44], v[38:39], v[41:42]
	v_fma_f64 v[35:36], v[38:39], v[41:42], -v[43:44]
	v_fma_f64 v[35:36], v[27:28], v[41:42], v[35:36]
	v_add_f64 v[41:42], v[43:44], v[35:36]
	v_add_f64 v[45:46], v[41:42], s[16:17]
	v_add_f64 v[43:44], v[41:42], -v[43:44]
	v_add_f64 v[49:50], v[45:46], s[46:47]
	v_add_f64 v[35:36], v[35:36], -v[43:44]
	v_fma_f64 v[43:44], v[38:39], v[25:26], -v[47:48]
	v_add_f64 v[41:42], v[41:42], -v[49:50]
	v_add_f64 v[35:36], v[35:36], s[48:49]
	v_fma_f64 v[38:39], v[38:39], v[23:24], v[43:44]
	v_ldexp_f64 v[23:24], v[23:24], 1
	v_add_f64 v[35:36], v[35:36], v[41:42]
	v_fma_f64 v[27:28], v[27:28], v[25:26], v[38:39]
	v_ldexp_f64 v[25:26], v[25:26], 1
	v_add_f64 v[38:39], v[45:46], v[35:36]
	v_add_f64 v[41:42], v[47:48], v[27:28]
	v_add_f64 v[43:44], v[45:46], -v[38:39]
	v_mul_f64 v[45:46], v[41:42], v[38:39]
	v_add_f64 v[47:48], v[41:42], -v[47:48]
	v_add_f64 v[35:36], v[35:36], v[43:44]
	v_fma_f64 v[43:44], v[41:42], v[38:39], -v[45:46]
	v_add_f64 v[27:28], v[27:28], -v[47:48]
	v_fma_f64 v[35:36], v[41:42], v[35:36], v[43:44]
	v_fma_f64 v[27:28], v[27:28], v[38:39], v[35:36]
	v_frexp_exp_i32_f64_e32 v38, v[21:22]
	v_add_f64 v[35:36], v[45:46], v[27:28]
	v_subbrev_co_u32_e32 v43, vcc, 0, v38, vcc
	v_cvt_f64_i32_e32 v[43:44], v43
	v_add_f64 v[38:39], v[25:26], v[35:36]
	v_add_f64 v[41:42], v[35:36], -v[45:46]
	v_mul_f64 v[45:46], v[43:44], s[50:51]
	v_add_f64 v[25:26], v[38:39], -v[25:26]
	v_add_f64 v[27:28], v[27:28], -v[41:42]
	v_fma_f64 v[41:42], v[43:44], s[50:51], -v[45:46]
	v_add_f64 v[25:26], v[35:36], -v[25:26]
	v_add_f64 v[23:24], v[23:24], v[27:28]
	v_fma_f64 v[27:28], v[43:44], s[52:53], v[41:42]
	v_add_f64 v[23:24], v[23:24], v[25:26]
	v_add_f64 v[25:26], v[45:46], v[27:28]
	;; [unrolled: 1-line block ×3, first 2 shown]
	v_add_f64 v[45:46], v[25:26], -v[45:46]
	v_add_f64 v[41:42], v[25:26], v[35:36]
	v_add_f64 v[38:39], v[35:36], -v[38:39]
	v_add_f64 v[27:28], v[27:28], -v[45:46]
	v_add_f64 v[43:44], v[41:42], -v[25:26]
	v_add_f64 v[23:24], v[23:24], -v[38:39]
	v_add_f64 v[47:48], v[41:42], -v[43:44]
	v_add_f64 v[35:36], v[35:36], -v[43:44]
	v_add_f64 v[38:39], v[27:28], v[23:24]
	v_add_f64 v[25:26], v[25:26], -v[47:48]
	v_add_f64 v[25:26], v[35:36], v[25:26]
	v_add_f64 v[35:36], v[38:39], -v[27:28]
	;; [unrolled: 2-line block ×3, first 2 shown]
	v_add_f64 v[23:24], v[23:24], -v[35:36]
	v_add_f64 v[43:44], v[41:42], v[25:26]
	v_add_f64 v[27:28], v[27:28], -v[38:39]
	v_add_f64 v[35:36], v[43:44], -v[41:42]
	v_add_f64 v[23:24], v[23:24], v[27:28]
	v_add_f64 v[25:26], v[25:26], -v[35:36]
	v_add_f64 v[23:24], v[23:24], v[25:26]
	v_add_f64 v[25:26], v[43:44], v[23:24]
	v_add_f64 v[35:36], v[25:26], -v[43:44]
	v_mul_f64 v[27:28], v[15:16], v[25:26]
	v_add_f64 v[23:24], v[23:24], -v[35:36]
	v_fma_f64 v[25:26], v[15:16], v[25:26], -v[27:28]
	v_cmp_class_f64_e64 vcc, v[27:28], s82
	v_fma_f64 v[25:26], v[15:16], v[23:24], v[25:26]
	v_add_f64 v[35:36], v[27:28], v[25:26]
	v_cndmask_b32_e32 v24, v36, v28, vcc
	v_cndmask_b32_e32 v23, v35, v27, vcc
	v_mul_f64 v[38:39], v[23:24], s[54:55]
	v_add_f64 v[27:28], v[35:36], -v[27:28]
	v_cmp_neq_f64_e64 vcc, |v[23:24]|, s[76:77]
	v_cmp_nlt_f64_e64 s[2:3], s[78:79], v[23:24]
	v_cmp_ngt_f64_e64 s[4:5], s[80:81], v[23:24]
	v_rndne_f64_e32 v[38:39], v[38:39]
	v_add_f64 v[25:26], v[25:26], -v[27:28]
	v_fma_f64 v[41:42], v[38:39], s[22:23], v[23:24]
	v_cndmask_b32_e32 v24, 0, v26, vcc
	v_cndmask_b32_e32 v23, 0, v25, vcc
	s_and_b64 vcc, s[4:5], s[2:3]
	v_fma_f64 v[41:42], v[38:39], s[56:57], v[41:42]
	v_cvt_i32_f64_e32 v38, v[38:39]
	v_fma_f64 v[43:44], v[41:42], s[58:59], v[7:8]
	v_fma_f64 v[43:44], v[41:42], v[43:44], s[60:61]
	;; [unrolled: 1-line block ×9, first 2 shown]
	v_fma_f64 v[43:44], v[41:42], v[43:44], 1.0
	v_fma_f64 v[41:42], v[41:42], v[43:44], 1.0
	v_ldexp_f64 v[35:36], v[41:42], v38
	v_cndmask_b32_e64 v27, v6, v36, s[2:3]
	s_xor_b64 s[2:3], s[14:15], s[20:21]
	v_cndmask_b32_e64 v26, 0, v27, s[4:5]
	v_cndmask_b32_e64 v27, v6, 0, s[2:3]
	v_cmp_neq_f64_e64 s[2:3], |v[21:22]|, 1.0
	v_cndmask_b32_e32 v25, 0, v35, vcc
	v_fma_f64 v[23:24], v[25:26], v[23:24], v[25:26]
	v_cmp_class_f64_e64 vcc, v[25:26], s82
	v_cmp_class_f64_e64 s[4:5], v[21:22], s82
	v_cndmask_b32_e64 v27, v37, v27, s[2:3]
	v_cmp_class_f64_e64 s[2:3], v[15:16], s82
	v_cndmask_b32_e32 v24, v24, v26, vcc
	v_and_b32_e32 v24, 0x7fffffff, v24
	v_cndmask_b32_e32 v23, v23, v25, vcc
	s_or_b64 vcc, s[24:25], s[4:5]
	v_cndmask_b32_e64 v26, v6, 0, s[6:7]
	v_cndmask_b32_e64 v24, v24, v27, s[2:3]
	s_or_b64 s[2:3], vcc, s[2:3]
	v_cndmask_b32_e64 v23, v23, 0, s[2:3]
	v_cmp_lt_f64_e64 s[2:3], 0, v[13:14]
	v_cndmask_b32_e32 v24, v24, v26, vcc
	v_cmp_o_f64_e64 vcc, |v[21:22]|, v[15:16]
	v_cndmask_b32_e64 v15, 0, 1, s[2:3]
	v_cmp_gt_f64_e64 s[2:3], 0, v[13:14]
	v_cndmask_b32_e32 v16, v40, v24, vcc
	v_subbrev_co_u32_e64 v13, s[2:3], 0, v15, s[2:3]
	v_cvt_f64_i32_e32 v[13:14], v13
	v_cndmask_b32_e32 v15, 0, v23, vcc
	v_mul_f64 v[13:14], v[15:16], v[13:14]
	v_mul_f64 v[13:14], v[17:18], v[13:14]
	v_div_scale_f64 v[15:16], s[2:3], v[11:12], v[11:12], v[13:14]
	v_div_scale_f64 v[25:26], vcc, v[13:14], v[11:12], v[13:14]
	v_rcp_f64_e32 v[21:22], v[15:16]
	v_fma_f64 v[23:24], -v[15:16], v[21:22], 1.0
	v_fma_f64 v[21:22], v[21:22], v[23:24], v[21:22]
	v_fma_f64 v[23:24], -v[15:16], v[21:22], 1.0
	v_fma_f64 v[21:22], v[21:22], v[23:24], v[21:22]
	v_mul_f64 v[23:24], v[25:26], v[21:22]
	v_fma_f64 v[15:16], -v[15:16], v[23:24], v[25:26]
	v_div_fmas_f64 v[15:16], v[15:16], v[21:22], v[23:24]
	v_div_fixup_f64 v[15:16], v[15:16], v[11:12], v[13:14]
	s_branch .LBB32_11
.LBB32_14:
	s_endpgm
	.section	.rodata,"a",@progbits
	.p2align	6, 0x0
	.amdhsa_kernel _ZN2at6native12_GLOBAL__N_131cdist_backward_kernel_cuda_implIdNS1_5distsIdE6lt_twoEEEvPT_PKS6_S9_S9_S9_S6_lllllll
		.amdhsa_group_segment_fixed_size 0
		.amdhsa_private_segment_fixed_size 0
		.amdhsa_kernarg_size 360
		.amdhsa_user_sgpr_count 6
		.amdhsa_user_sgpr_private_segment_buffer 1
		.amdhsa_user_sgpr_dispatch_ptr 0
		.amdhsa_user_sgpr_queue_ptr 0
		.amdhsa_user_sgpr_kernarg_segment_ptr 1
		.amdhsa_user_sgpr_dispatch_id 0
		.amdhsa_user_sgpr_flat_scratch_init 0
		.amdhsa_user_sgpr_private_segment_size 0
		.amdhsa_uses_dynamic_stack 0
		.amdhsa_system_sgpr_private_segment_wavefront_offset 0
		.amdhsa_system_sgpr_workgroup_id_x 1
		.amdhsa_system_sgpr_workgroup_id_y 1
		.amdhsa_system_sgpr_workgroup_id_z 1
		.amdhsa_system_sgpr_workgroup_info 0
		.amdhsa_system_vgpr_workitem_id 1
		.amdhsa_next_free_vgpr 59
		.amdhsa_next_free_sgpr 83
		.amdhsa_reserve_vcc 1
		.amdhsa_reserve_flat_scratch 0
		.amdhsa_float_round_mode_32 0
		.amdhsa_float_round_mode_16_64 0
		.amdhsa_float_denorm_mode_32 3
		.amdhsa_float_denorm_mode_16_64 3
		.amdhsa_dx10_clamp 1
		.amdhsa_ieee_mode 1
		.amdhsa_fp16_overflow 0
		.amdhsa_exception_fp_ieee_invalid_op 0
		.amdhsa_exception_fp_denorm_src 0
		.amdhsa_exception_fp_ieee_div_zero 0
		.amdhsa_exception_fp_ieee_overflow 0
		.amdhsa_exception_fp_ieee_underflow 0
		.amdhsa_exception_fp_ieee_inexact 0
		.amdhsa_exception_int_div_zero 0
	.end_amdhsa_kernel
	.section	.text._ZN2at6native12_GLOBAL__N_131cdist_backward_kernel_cuda_implIdNS1_5distsIdE6lt_twoEEEvPT_PKS6_S9_S9_S9_S6_lllllll,"axG",@progbits,_ZN2at6native12_GLOBAL__N_131cdist_backward_kernel_cuda_implIdNS1_5distsIdE6lt_twoEEEvPT_PKS6_S9_S9_S9_S6_lllllll,comdat
.Lfunc_end32:
	.size	_ZN2at6native12_GLOBAL__N_131cdist_backward_kernel_cuda_implIdNS1_5distsIdE6lt_twoEEEvPT_PKS6_S9_S9_S9_S6_lllllll, .Lfunc_end32-_ZN2at6native12_GLOBAL__N_131cdist_backward_kernel_cuda_implIdNS1_5distsIdE6lt_twoEEEvPT_PKS6_S9_S9_S9_S6_lllllll
                                        ; -- End function
	.set _ZN2at6native12_GLOBAL__N_131cdist_backward_kernel_cuda_implIdNS1_5distsIdE6lt_twoEEEvPT_PKS6_S9_S9_S9_S6_lllllll.num_vgpr, 59
	.set _ZN2at6native12_GLOBAL__N_131cdist_backward_kernel_cuda_implIdNS1_5distsIdE6lt_twoEEEvPT_PKS6_S9_S9_S9_S6_lllllll.num_agpr, 0
	.set _ZN2at6native12_GLOBAL__N_131cdist_backward_kernel_cuda_implIdNS1_5distsIdE6lt_twoEEEvPT_PKS6_S9_S9_S9_S6_lllllll.numbered_sgpr, 83
	.set _ZN2at6native12_GLOBAL__N_131cdist_backward_kernel_cuda_implIdNS1_5distsIdE6lt_twoEEEvPT_PKS6_S9_S9_S9_S6_lllllll.num_named_barrier, 0
	.set _ZN2at6native12_GLOBAL__N_131cdist_backward_kernel_cuda_implIdNS1_5distsIdE6lt_twoEEEvPT_PKS6_S9_S9_S9_S6_lllllll.private_seg_size, 0
	.set _ZN2at6native12_GLOBAL__N_131cdist_backward_kernel_cuda_implIdNS1_5distsIdE6lt_twoEEEvPT_PKS6_S9_S9_S9_S6_lllllll.uses_vcc, 1
	.set _ZN2at6native12_GLOBAL__N_131cdist_backward_kernel_cuda_implIdNS1_5distsIdE6lt_twoEEEvPT_PKS6_S9_S9_S9_S6_lllllll.uses_flat_scratch, 0
	.set _ZN2at6native12_GLOBAL__N_131cdist_backward_kernel_cuda_implIdNS1_5distsIdE6lt_twoEEEvPT_PKS6_S9_S9_S9_S6_lllllll.has_dyn_sized_stack, 0
	.set _ZN2at6native12_GLOBAL__N_131cdist_backward_kernel_cuda_implIdNS1_5distsIdE6lt_twoEEEvPT_PKS6_S9_S9_S9_S6_lllllll.has_recursion, 0
	.set _ZN2at6native12_GLOBAL__N_131cdist_backward_kernel_cuda_implIdNS1_5distsIdE6lt_twoEEEvPT_PKS6_S9_S9_S9_S6_lllllll.has_indirect_call, 0
	.section	.AMDGPU.csdata,"",@progbits
; Kernel info:
; codeLenInByte = 5632
; TotalNumSgprs: 87
; NumVgprs: 59
; ScratchSize: 0
; MemoryBound: 0
; FloatMode: 240
; IeeeMode: 1
; LDSByteSize: 0 bytes/workgroup (compile time only)
; SGPRBlocks: 10
; VGPRBlocks: 14
; NumSGPRsForWavesPerEU: 87
; NumVGPRsForWavesPerEU: 59
; Occupancy: 4
; WaveLimiterHint : 0
; COMPUTE_PGM_RSRC2:SCRATCH_EN: 0
; COMPUTE_PGM_RSRC2:USER_SGPR: 6
; COMPUTE_PGM_RSRC2:TRAP_HANDLER: 0
; COMPUTE_PGM_RSRC2:TGID_X_EN: 1
; COMPUTE_PGM_RSRC2:TGID_Y_EN: 1
; COMPUTE_PGM_RSRC2:TGID_Z_EN: 1
; COMPUTE_PGM_RSRC2:TIDIG_COMP_CNT: 1
	.section	.text._ZN2at6native12_GLOBAL__N_131cdist_backward_kernel_cuda_implIdNS1_5distsIdE3twoEEEvPT_PKS6_S9_S9_S9_S6_lllllll,"axG",@progbits,_ZN2at6native12_GLOBAL__N_131cdist_backward_kernel_cuda_implIdNS1_5distsIdE3twoEEEvPT_PKS6_S9_S9_S9_S6_lllllll,comdat
	.globl	_ZN2at6native12_GLOBAL__N_131cdist_backward_kernel_cuda_implIdNS1_5distsIdE3twoEEEvPT_PKS6_S9_S9_S9_S6_lllllll ; -- Begin function _ZN2at6native12_GLOBAL__N_131cdist_backward_kernel_cuda_implIdNS1_5distsIdE3twoEEEvPT_PKS6_S9_S9_S9_S6_lllllll
	.p2align	8
	.type	_ZN2at6native12_GLOBAL__N_131cdist_backward_kernel_cuda_implIdNS1_5distsIdE3twoEEEvPT_PKS6_S9_S9_S9_S6_lllllll,@function
_ZN2at6native12_GLOBAL__N_131cdist_backward_kernel_cuda_implIdNS1_5distsIdE3twoEEEvPT_PKS6_S9_S9_S9_S6_lllllll: ; @_ZN2at6native12_GLOBAL__N_131cdist_backward_kernel_cuda_implIdNS1_5distsIdE3twoEEEvPT_PKS6_S9_S9_S9_S6_lllllll
; %bb.0:
	s_load_dwordx2 s[0:1], s[4:5], 0x70
	s_load_dwordx8 s[12:19], s[4:5], 0x30
	s_add_u32 s2, s4, 0x68
	s_addc_u32 s3, s5, 0
	s_waitcnt lgkmcnt(0)
	s_mul_i32 s0, s0, s7
	s_add_i32 s0, s0, s8
	s_lshr_b32 s7, s1, 16
	s_mul_i32 s0, s0, s7
	v_add_u32_e32 v2, s0, v1
	v_ashrrev_i32_e32 v3, 31, v2
	v_cmp_gt_i64_e32 vcc, s[18:19], v[2:3]
	s_and_saveexec_b64 s[8:9], vcc
	s_cbranch_execz .LBB33_14
; %bb.1:
	s_and_b32 s18, s1, 0xffff
	s_load_dwordx8 s[20:27], s[4:5], 0x50
	s_mul_i32 s6, s6, s18
	v_add_u32_e32 v0, s6, v0
	v_ashrrev_i32_e32 v1, 31, v0
	v_cmp_gt_i64_e32 vcc, s[16:17], v[0:1]
	s_and_b64 exec, exec, vcc
	s_cbranch_execz .LBB33_14
; %bb.2:
	s_waitcnt lgkmcnt(0)
	v_or_b32_e32 v5, s21, v3
	v_mov_b32_e32 v4, 0
	v_cmp_ne_u64_e32 vcc, 0, v[4:5]
                                        ; implicit-def: $vgpr4_vgpr5
	s_and_saveexec_b64 s[0:1], vcc
	s_xor_b64 s[6:7], exec, s[0:1]
	s_cbranch_execz .LBB33_4
; %bb.3:
	s_ashr_i32 s8, s21, 31
	s_add_u32 s0, s20, s8
	s_mov_b32 s9, s8
	s_addc_u32 s1, s21, s8
	s_xor_b64 s[10:11], s[0:1], s[8:9]
	v_cvt_f32_u32_e32 v4, s10
	v_cvt_f32_u32_e32 v5, s11
	s_sub_u32 s9, 0, s10
	s_subb_u32 s19, 0, s11
	v_ashrrev_i32_e32 v8, 31, v3
	v_madmk_f32 v4, v5, 0x4f800000, v4
	v_rcp_f32_e32 v4, v4
	v_mul_f32_e32 v4, 0x5f7ffffc, v4
	v_mul_f32_e32 v5, 0x2f800000, v4
	v_trunc_f32_e32 v5, v5
	v_madmk_f32 v4, v5, 0xcf800000, v4
	v_cvt_u32_f32_e32 v5, v5
	v_cvt_u32_f32_e32 v4, v4
	v_readfirstlane_b32 s26, v5
	v_readfirstlane_b32 s0, v4
	s_mul_i32 s1, s9, s26
	s_mul_hi_u32 s28, s9, s0
	s_mul_i32 s27, s19, s0
	s_add_i32 s1, s28, s1
	s_add_i32 s1, s1, s27
	s_mul_i32 s29, s9, s0
	s_mul_i32 s28, s0, s1
	s_mul_hi_u32 s30, s0, s29
	s_mul_hi_u32 s27, s0, s1
	s_add_u32 s28, s30, s28
	s_addc_u32 s27, 0, s27
	s_mul_hi_u32 s31, s26, s29
	s_mul_i32 s29, s26, s29
	s_add_u32 s28, s28, s29
	s_mul_hi_u32 s30, s26, s1
	s_addc_u32 s27, s27, s31
	s_addc_u32 s28, s30, 0
	s_mul_i32 s1, s26, s1
	s_add_u32 s1, s27, s1
	s_addc_u32 s27, 0, s28
	s_add_u32 s28, s0, s1
	s_cselect_b64 s[0:1], -1, 0
	s_cmp_lg_u64 s[0:1], 0
	s_addc_u32 s26, s26, s27
	s_mul_i32 s0, s9, s26
	s_mul_hi_u32 s1, s9, s28
	s_add_i32 s0, s1, s0
	s_mul_i32 s19, s19, s28
	s_add_i32 s0, s0, s19
	s_mul_i32 s9, s9, s28
	s_mul_hi_u32 s19, s26, s9
	s_mul_i32 s27, s26, s9
	s_mul_i32 s30, s28, s0
	s_mul_hi_u32 s9, s28, s9
	s_mul_hi_u32 s29, s28, s0
	s_add_u32 s9, s9, s30
	s_addc_u32 s29, 0, s29
	s_add_u32 s9, s9, s27
	s_mul_hi_u32 s1, s26, s0
	s_addc_u32 s9, s29, s19
	s_addc_u32 s1, s1, 0
	s_mul_i32 s0, s26, s0
	s_add_u32 s0, s9, s0
	s_addc_u32 s9, 0, s1
	s_add_u32 s19, s28, s0
	s_cselect_b64 s[0:1], -1, 0
	s_cmp_lg_u64 s[0:1], 0
	v_add_co_u32_e32 v4, vcc, v2, v8
	s_addc_u32 s9, s26, s9
	v_xor_b32_e32 v9, v4, v8
	v_mad_u64_u32 v[4:5], s[0:1], v9, s9, 0
	v_mul_hi_u32 v7, v9, s19
	v_addc_co_u32_e32 v6, vcc, v3, v8, vcc
	v_xor_b32_e32 v10, v6, v8
	v_add_co_u32_e32 v11, vcc, v7, v4
	v_addc_co_u32_e32 v12, vcc, 0, v5, vcc
	v_mad_u64_u32 v[4:5], s[0:1], v10, s19, 0
	v_mad_u64_u32 v[6:7], s[0:1], v10, s9, 0
	v_add_co_u32_e32 v4, vcc, v11, v4
	v_addc_co_u32_e32 v4, vcc, v12, v5, vcc
	v_addc_co_u32_e32 v5, vcc, 0, v7, vcc
	v_add_co_u32_e32 v6, vcc, v4, v6
	v_addc_co_u32_e32 v7, vcc, 0, v5, vcc
	v_mul_lo_u32 v11, s11, v6
	v_mul_lo_u32 v12, s10, v7
	v_mad_u64_u32 v[4:5], s[0:1], s10, v6, 0
	v_add3_u32 v5, v5, v12, v11
	v_sub_u32_e32 v11, v10, v5
	v_mov_b32_e32 v12, s11
	v_sub_co_u32_e32 v4, vcc, v9, v4
	v_subb_co_u32_e64 v9, s[0:1], v11, v12, vcc
	v_subrev_co_u32_e64 v11, s[0:1], s10, v4
	v_subbrev_co_u32_e64 v9, s[0:1], 0, v9, s[0:1]
	v_cmp_le_u32_e64 s[0:1], s11, v9
	v_cndmask_b32_e64 v12, 0, -1, s[0:1]
	v_cmp_le_u32_e64 s[0:1], s10, v11
	v_cndmask_b32_e64 v11, 0, -1, s[0:1]
	v_cmp_eq_u32_e64 s[0:1], s11, v9
	v_cndmask_b32_e64 v9, v12, v11, s[0:1]
	v_add_co_u32_e64 v11, s[0:1], 2, v6
	v_subb_co_u32_e32 v5, vcc, v10, v5, vcc
	v_addc_co_u32_e64 v12, s[0:1], 0, v7, s[0:1]
	v_cmp_le_u32_e32 vcc, s11, v5
	v_add_co_u32_e64 v13, s[0:1], 1, v6
	v_cndmask_b32_e64 v10, 0, -1, vcc
	v_cmp_le_u32_e32 vcc, s10, v4
	v_addc_co_u32_e64 v14, s[0:1], 0, v7, s[0:1]
	v_cndmask_b32_e64 v4, 0, -1, vcc
	v_cmp_eq_u32_e32 vcc, s11, v5
	v_cmp_ne_u32_e64 s[0:1], 0, v9
	v_cndmask_b32_e32 v4, v10, v4, vcc
	v_cndmask_b32_e64 v9, v14, v12, s[0:1]
	v_cmp_ne_u32_e32 vcc, 0, v4
	v_cndmask_b32_e64 v5, v13, v11, s[0:1]
	v_cndmask_b32_e32 v4, v7, v9, vcc
	v_cndmask_b32_e32 v5, v6, v5, vcc
	v_xor_b32_e32 v6, s8, v8
	v_xor_b32_e32 v7, v4, v6
	;; [unrolled: 1-line block ×3, first 2 shown]
	v_sub_co_u32_e32 v4, vcc, v4, v6
	v_subb_co_u32_e32 v5, vcc, v7, v6, vcc
.LBB33_4:
	s_andn2_saveexec_b64 s[0:1], s[6:7]
	s_cbranch_execz .LBB33_6
; %bb.5:
	v_cvt_f32_u32_e32 v4, s20
	s_sub_i32 s6, 0, s20
	v_rcp_iflag_f32_e32 v4, v4
	v_mul_f32_e32 v4, 0x4f7ffffe, v4
	v_cvt_u32_f32_e32 v4, v4
	v_mul_lo_u32 v5, s6, v4
	v_mul_hi_u32 v5, v4, v5
	v_add_u32_e32 v4, v4, v5
	v_mul_hi_u32 v4, v2, v4
	v_mul_lo_u32 v5, v4, s20
	v_add_u32_e32 v6, 1, v4
	v_sub_u32_e32 v5, v2, v5
	v_subrev_u32_e32 v7, s20, v5
	v_cmp_le_u32_e32 vcc, s20, v5
	v_cndmask_b32_e32 v5, v5, v7, vcc
	v_cndmask_b32_e32 v4, v4, v6, vcc
	v_add_u32_e32 v6, 1, v4
	v_cmp_le_u32_e32 vcc, s20, v5
	v_cndmask_b32_e32 v4, v4, v6, vcc
	v_mov_b32_e32 v5, 0
.LBB33_6:
	s_or_b64 exec, exec, s[0:1]
	v_mul_lo_u32 v7, v5, s20
	v_mul_lo_u32 v8, v4, s21
	v_mad_u64_u32 v[5:6], s[0:1], v4, s20, 0
	v_add3_u32 v6, v6, v8, v7
	v_sub_co_u32_e32 v10, vcc, v2, v5
	v_subb_co_u32_e32 v11, vcc, v3, v6, vcc
	v_or_b32_e32 v7, s15, v11
	v_mov_b32_e32 v6, 0
	v_cmp_ne_u64_e32 vcc, 0, v[6:7]
                                        ; implicit-def: $vgpr8_vgpr9
	s_and_saveexec_b64 s[0:1], vcc
	s_xor_b64 s[6:7], exec, s[0:1]
	s_cbranch_execz .LBB33_8
; %bb.7:
	s_ashr_i32 s8, s15, 31
	s_add_u32 s0, s14, s8
	s_mov_b32 s9, s8
	s_addc_u32 s1, s15, s8
	s_xor_b64 s[10:11], s[0:1], s[8:9]
	v_cvt_f32_u32_e32 v6, s10
	v_cvt_f32_u32_e32 v7, s11
	s_sub_u32 s9, 0, s10
	s_subb_u32 s19, 0, s11
	v_ashrrev_i32_e32 v12, 31, v11
	v_madmk_f32 v6, v7, 0x4f800000, v6
	v_rcp_f32_e32 v6, v6
	v_mul_f32_e32 v6, 0x5f7ffffc, v6
	v_mul_f32_e32 v7, 0x2f800000, v6
	v_trunc_f32_e32 v7, v7
	v_madmk_f32 v6, v7, 0xcf800000, v6
	v_cvt_u32_f32_e32 v7, v7
	v_cvt_u32_f32_e32 v6, v6
	v_readfirstlane_b32 s20, v7
	v_readfirstlane_b32 s0, v6
	s_mul_i32 s1, s9, s20
	s_mul_hi_u32 s26, s9, s0
	s_mul_i32 s21, s19, s0
	s_add_i32 s1, s26, s1
	s_add_i32 s1, s1, s21
	s_mul_i32 s27, s9, s0
	s_mul_i32 s26, s0, s1
	s_mul_hi_u32 s28, s0, s27
	s_mul_hi_u32 s21, s0, s1
	s_add_u32 s26, s28, s26
	s_addc_u32 s21, 0, s21
	s_mul_hi_u32 s29, s20, s27
	s_mul_i32 s27, s20, s27
	s_add_u32 s26, s26, s27
	s_mul_hi_u32 s28, s20, s1
	s_addc_u32 s21, s21, s29
	s_addc_u32 s26, s28, 0
	s_mul_i32 s1, s20, s1
	s_add_u32 s1, s21, s1
	s_addc_u32 s21, 0, s26
	s_add_u32 s26, s0, s1
	s_cselect_b64 s[0:1], -1, 0
	s_cmp_lg_u64 s[0:1], 0
	s_addc_u32 s20, s20, s21
	s_mul_i32 s0, s9, s20
	s_mul_hi_u32 s1, s9, s26
	s_add_i32 s0, s1, s0
	s_mul_i32 s19, s19, s26
	s_add_i32 s0, s0, s19
	s_mul_i32 s9, s9, s26
	s_mul_hi_u32 s19, s20, s9
	s_mul_i32 s21, s20, s9
	s_mul_i32 s28, s26, s0
	s_mul_hi_u32 s9, s26, s9
	s_mul_hi_u32 s27, s26, s0
	s_add_u32 s9, s9, s28
	s_addc_u32 s27, 0, s27
	s_add_u32 s9, s9, s21
	s_mul_hi_u32 s1, s20, s0
	s_addc_u32 s9, s27, s19
	s_addc_u32 s1, s1, 0
	s_mul_i32 s0, s20, s0
	s_add_u32 s0, s9, s0
	s_addc_u32 s9, 0, s1
	s_add_u32 s19, s26, s0
	s_cselect_b64 s[0:1], -1, 0
	s_cmp_lg_u64 s[0:1], 0
	v_add_co_u32_e32 v6, vcc, v10, v12
	s_addc_u32 s9, s20, s9
	v_xor_b32_e32 v13, v6, v12
	v_mad_u64_u32 v[6:7], s[0:1], v13, s9, 0
	v_mul_hi_u32 v9, v13, s19
	v_addc_co_u32_e32 v8, vcc, v11, v12, vcc
	v_xor_b32_e32 v14, v8, v12
	v_add_co_u32_e32 v15, vcc, v9, v6
	v_addc_co_u32_e32 v16, vcc, 0, v7, vcc
	v_mad_u64_u32 v[6:7], s[0:1], v14, s19, 0
	v_mad_u64_u32 v[8:9], s[0:1], v14, s9, 0
	v_add_co_u32_e32 v6, vcc, v15, v6
	v_addc_co_u32_e32 v6, vcc, v16, v7, vcc
	v_addc_co_u32_e32 v7, vcc, 0, v9, vcc
	v_add_co_u32_e32 v8, vcc, v6, v8
	v_addc_co_u32_e32 v9, vcc, 0, v7, vcc
	v_mul_lo_u32 v15, s11, v8
	v_mul_lo_u32 v16, s10, v9
	v_mad_u64_u32 v[6:7], s[0:1], s10, v8, 0
	v_add3_u32 v7, v7, v16, v15
	v_sub_u32_e32 v15, v14, v7
	v_mov_b32_e32 v16, s11
	v_sub_co_u32_e32 v6, vcc, v13, v6
	v_subb_co_u32_e64 v13, s[0:1], v15, v16, vcc
	v_subrev_co_u32_e64 v15, s[0:1], s10, v6
	v_subbrev_co_u32_e64 v13, s[0:1], 0, v13, s[0:1]
	v_cmp_le_u32_e64 s[0:1], s11, v13
	v_cndmask_b32_e64 v16, 0, -1, s[0:1]
	v_cmp_le_u32_e64 s[0:1], s10, v15
	v_cndmask_b32_e64 v15, 0, -1, s[0:1]
	v_cmp_eq_u32_e64 s[0:1], s11, v13
	v_cndmask_b32_e64 v13, v16, v15, s[0:1]
	v_add_co_u32_e64 v15, s[0:1], 2, v8
	v_subb_co_u32_e32 v7, vcc, v14, v7, vcc
	v_addc_co_u32_e64 v16, s[0:1], 0, v9, s[0:1]
	v_cmp_le_u32_e32 vcc, s11, v7
	v_add_co_u32_e64 v17, s[0:1], 1, v8
	v_cndmask_b32_e64 v14, 0, -1, vcc
	v_cmp_le_u32_e32 vcc, s10, v6
	v_addc_co_u32_e64 v18, s[0:1], 0, v9, s[0:1]
	v_cndmask_b32_e64 v6, 0, -1, vcc
	v_cmp_eq_u32_e32 vcc, s11, v7
	v_cmp_ne_u32_e64 s[0:1], 0, v13
	v_cndmask_b32_e32 v6, v14, v6, vcc
	v_cndmask_b32_e64 v13, v18, v16, s[0:1]
	v_cmp_ne_u32_e32 vcc, 0, v6
	v_cndmask_b32_e64 v7, v17, v15, s[0:1]
	v_cndmask_b32_e32 v6, v9, v13, vcc
	v_cndmask_b32_e32 v7, v8, v7, vcc
	v_xor_b32_e32 v9, s8, v12
	v_xor_b32_e32 v7, v7, v9
	;; [unrolled: 1-line block ×3, first 2 shown]
	v_sub_co_u32_e32 v8, vcc, v7, v9
	v_subb_co_u32_e32 v9, vcc, v6, v9, vcc
.LBB33_8:
	s_or_saveexec_b64 s[0:1], s[6:7]
	s_load_dword s2, s[2:3], 0x0
	s_xor_b64 exec, exec, s[0:1]
	s_cbranch_execz .LBB33_10
; %bb.9:
	v_cvt_f32_u32_e32 v6, s14
	s_sub_i32 s3, 0, s14
	v_rcp_iflag_f32_e32 v6, v6
	v_mul_f32_e32 v6, 0x4f7ffffe, v6
	v_cvt_u32_f32_e32 v6, v6
	v_mul_lo_u32 v7, s3, v6
	v_mul_hi_u32 v7, v6, v7
	v_add_u32_e32 v6, v6, v7
	v_mul_hi_u32 v6, v10, v6
	v_mul_lo_u32 v7, v6, s14
	v_add_u32_e32 v8, 1, v6
	v_sub_u32_e32 v7, v10, v7
	v_subrev_u32_e32 v9, s14, v7
	v_cmp_le_u32_e32 vcc, s14, v7
	v_cndmask_b32_e32 v7, v7, v9, vcc
	v_cndmask_b32_e32 v6, v6, v8, vcc
	v_add_u32_e32 v8, 1, v6
	v_cmp_le_u32_e32 vcc, s14, v7
	v_cndmask_b32_e32 v8, v6, v8, vcc
	v_mov_b32_e32 v9, 0
.LBB33_10:
	s_or_b64 exec, exec, s[0:1]
	s_load_dwordx8 s[36:43], s[4:5], 0x0
	s_load_dwordx2 s[0:1], s[4:5], 0x20
	v_lshlrev_b64 v[6:7], 3, v[2:3]
	v_ashrrev_i32_e32 v18, 31, v4
	v_mul_lo_u32 v15, v4, s23
	s_waitcnt lgkmcnt(0)
	v_mov_b32_e32 v14, s39
	v_mov_b32_e32 v3, s1
	v_add_co_u32_e32 v2, vcc, s0, v6
	v_addc_co_u32_e32 v3, vcc, v3, v7, vcc
	global_load_dwordx2 v[2:3], v[2:3], off
	v_add_co_u32_e32 v6, vcc, s38, v6
	v_addc_co_u32_e32 v7, vcc, v14, v7, vcc
	global_load_dwordx2 v[6:7], v[6:7], off
	v_mul_lo_u32 v16, v18, s22
	v_mad_u64_u32 v[12:13], s[0:1], v4, s22, 0
	v_mul_lo_u32 v17, v9, s16
	v_mul_lo_u32 v19, v8, s17
	v_add3_u32 v13, v13, v15, v16
	v_mad_u64_u32 v[14:15], s[0:1], v8, s16, 0
	v_lshlrev_b64 v[12:13], 3, v[12:13]
	v_mov_b32_e32 v16, s41
	v_add_co_u32_e32 v20, vcc, s40, v12
	v_add3_u32 v15, v15, v19, v17
	v_addc_co_u32_e32 v21, vcc, v16, v13, vcc
	v_lshlrev_b64 v[12:13], 3, v[14:15]
	v_mul_lo_u32 v15, s16, v5
	v_mul_lo_u32 v5, v9, s14
	;; [unrolled: 1-line block ×3, first 2 shown]
	v_mad_u64_u32 v[16:17], s[0:1], v8, s14, 0
	v_add_co_u32_e32 v12, vcc, v20, v12
	v_addc_co_u32_e32 v13, vcc, v21, v13, vcc
	v_add3_u32 v5, v17, v14, v5
	v_sub_co_u32_e32 v16, vcc, v10, v16
	v_subb_co_u32_e32 v17, vcc, v11, v5, vcc
	v_mul_lo_u32 v5, v16, s13
	v_mul_lo_u32 v19, v17, s12
	v_mad_u64_u32 v[8:9], s[0:1], v16, s12, v[8:9]
	v_mov_b32_e32 v14, 0
	v_ashrrev_i64 v[10:11], 29, v[14:15]
	v_add3_u32 v5, v19, v9, v5
	v_mul_lo_u32 v5, v5, s16
	v_mul_lo_u32 v9, v8, s17
	v_mad_u64_u32 v[14:15], s[0:1], v8, s16, 0
	v_mov_b32_e32 v20, s37
	v_add_co_u32_e32 v19, vcc, s36, v10
	v_addc_co_u32_e32 v20, vcc, v20, v11, vcc
	s_lshl_b64 s[0:1], s[16:17], 3
	v_mov_b32_e32 v10, s1
	v_add3_u32 v15, v15, v9, v5
	v_add_co_u32_e32 v8, vcc, s0, v12
	v_mul_lo_u32 v21, v4, s25
	v_mul_lo_u32 v18, v18, s24
	v_mad_u64_u32 v[4:5], s[0:1], v4, s24, 0
	v_addc_co_u32_e32 v9, vcc, v13, v10, vcc
	v_lshlrev_b64 v[10:11], 3, v[14:15]
	v_add3_u32 v5, v5, v21, v18
	v_add_co_u32_e32 v14, vcc, v19, v10
	v_lshlrev_b64 v[4:5], 3, v[4:5]
	v_addc_co_u32_e32 v15, vcc, v20, v11, vcc
	v_mov_b32_e32 v10, s43
	v_add_co_u32_e32 v18, vcc, s42, v4
	v_addc_co_u32_e32 v19, vcc, v10, v5, vcc
	v_mul_lo_u32 v17, v17, s16
	v_mul_lo_u32 v20, v16, s17
	v_mad_u64_u32 v[10:11], s[0:1], v16, s16, 0
	v_lshlrev_b64 v[0:1], 3, v[0:1]
	s_waitcnt vmcnt(1)
	v_cmp_neq_f64_e64 s[0:1], 0, v[2:3]
	v_add3_u32 v11, v11, v20, v17
	v_add_co_u32_e32 v4, vcc, v12, v0
	v_lshlrev_b64 v[10:11], 3, v[10:11]
	v_addc_co_u32_e32 v5, vcc, v13, v1, vcc
	s_mul_i32 s4, s2, s18
	v_add_co_u32_e32 v16, vcc, v18, v10
	s_ashr_i32 s5, s4, 31
	v_addc_co_u32_e32 v17, vcc, v19, v11, vcc
	s_mov_b64 s[2:3], 0
	s_lshl_b64 s[4:5], s[4:5], 3
	s_branch .LBB33_12
.LBB33_11:                              ;   in Loop: Header=BB33_12 Depth=1
	s_or_b64 exec, exec, s[6:7]
	v_add_co_u32_e32 v18, vcc, v14, v0
	v_addc_co_u32_e32 v19, vcc, v15, v1, vcc
	v_mov_b32_e32 v20, s5
	v_add_co_u32_e32 v4, vcc, s4, v4
	v_addc_co_u32_e32 v5, vcc, v5, v20, vcc
	v_cmp_ge_u64_e32 vcc, v[4:5], v[8:9]
	global_store_dwordx2 v[18:19], v[10:11], off
	s_or_b64 s[2:3], vcc, s[2:3]
	v_add_co_u32_e32 v0, vcc, s4, v0
	v_addc_co_u32_e32 v1, vcc, v1, v20, vcc
	s_andn2_b64 exec, exec, s[2:3]
	s_cbranch_execz .LBB33_14
.LBB33_12:                              ; =>This Inner Loop Header: Depth=1
	v_mov_b32_e32 v10, 0
	v_mov_b32_e32 v11, 0
	s_and_saveexec_b64 s[6:7], s[0:1]
	s_cbranch_execz .LBB33_11
; %bb.13:                               ;   in Loop: Header=BB33_12 Depth=1
	v_add_co_u32_e32 v10, vcc, v16, v0
	v_addc_co_u32_e32 v11, vcc, v17, v1, vcc
	v_add_co_u32_e32 v18, vcc, v12, v0
	v_addc_co_u32_e32 v19, vcc, v13, v1, vcc
	global_load_dwordx2 v[20:21], v[18:19], off
	global_load_dwordx2 v[22:23], v[10:11], off
	s_waitcnt vmcnt(0)
	v_add_f64 v[10:11], v[20:21], -v[22:23]
	v_mul_f64 v[10:11], v[6:7], v[10:11]
	v_div_scale_f64 v[18:19], s[8:9], v[2:3], v[2:3], v[10:11]
	v_div_scale_f64 v[24:25], vcc, v[10:11], v[2:3], v[10:11]
	v_rcp_f64_e32 v[20:21], v[18:19]
	v_fma_f64 v[22:23], -v[18:19], v[20:21], 1.0
	v_fma_f64 v[20:21], v[20:21], v[22:23], v[20:21]
	v_fma_f64 v[22:23], -v[18:19], v[20:21], 1.0
	v_fma_f64 v[20:21], v[20:21], v[22:23], v[20:21]
	v_mul_f64 v[22:23], v[24:25], v[20:21]
	v_fma_f64 v[18:19], -v[18:19], v[22:23], v[24:25]
	v_div_fmas_f64 v[18:19], v[18:19], v[20:21], v[22:23]
	v_div_fixup_f64 v[10:11], v[18:19], v[2:3], v[10:11]
	s_branch .LBB33_11
.LBB33_14:
	s_endpgm
	.section	.rodata,"a",@progbits
	.p2align	6, 0x0
	.amdhsa_kernel _ZN2at6native12_GLOBAL__N_131cdist_backward_kernel_cuda_implIdNS1_5distsIdE3twoEEEvPT_PKS6_S9_S9_S9_S6_lllllll
		.amdhsa_group_segment_fixed_size 0
		.amdhsa_private_segment_fixed_size 0
		.amdhsa_kernarg_size 360
		.amdhsa_user_sgpr_count 6
		.amdhsa_user_sgpr_private_segment_buffer 1
		.amdhsa_user_sgpr_dispatch_ptr 0
		.amdhsa_user_sgpr_queue_ptr 0
		.amdhsa_user_sgpr_kernarg_segment_ptr 1
		.amdhsa_user_sgpr_dispatch_id 0
		.amdhsa_user_sgpr_flat_scratch_init 0
		.amdhsa_user_sgpr_private_segment_size 0
		.amdhsa_uses_dynamic_stack 0
		.amdhsa_system_sgpr_private_segment_wavefront_offset 0
		.amdhsa_system_sgpr_workgroup_id_x 1
		.amdhsa_system_sgpr_workgroup_id_y 1
		.amdhsa_system_sgpr_workgroup_id_z 1
		.amdhsa_system_sgpr_workgroup_info 0
		.amdhsa_system_vgpr_workitem_id 1
		.amdhsa_next_free_vgpr 26
		.amdhsa_next_free_sgpr 44
		.amdhsa_reserve_vcc 1
		.amdhsa_reserve_flat_scratch 0
		.amdhsa_float_round_mode_32 0
		.amdhsa_float_round_mode_16_64 0
		.amdhsa_float_denorm_mode_32 3
		.amdhsa_float_denorm_mode_16_64 3
		.amdhsa_dx10_clamp 1
		.amdhsa_ieee_mode 1
		.amdhsa_fp16_overflow 0
		.amdhsa_exception_fp_ieee_invalid_op 0
		.amdhsa_exception_fp_denorm_src 0
		.amdhsa_exception_fp_ieee_div_zero 0
		.amdhsa_exception_fp_ieee_overflow 0
		.amdhsa_exception_fp_ieee_underflow 0
		.amdhsa_exception_fp_ieee_inexact 0
		.amdhsa_exception_int_div_zero 0
	.end_amdhsa_kernel
	.section	.text._ZN2at6native12_GLOBAL__N_131cdist_backward_kernel_cuda_implIdNS1_5distsIdE3twoEEEvPT_PKS6_S9_S9_S9_S6_lllllll,"axG",@progbits,_ZN2at6native12_GLOBAL__N_131cdist_backward_kernel_cuda_implIdNS1_5distsIdE3twoEEEvPT_PKS6_S9_S9_S9_S6_lllllll,comdat
.Lfunc_end33:
	.size	_ZN2at6native12_GLOBAL__N_131cdist_backward_kernel_cuda_implIdNS1_5distsIdE3twoEEEvPT_PKS6_S9_S9_S9_S6_lllllll, .Lfunc_end33-_ZN2at6native12_GLOBAL__N_131cdist_backward_kernel_cuda_implIdNS1_5distsIdE3twoEEEvPT_PKS6_S9_S9_S9_S6_lllllll
                                        ; -- End function
	.set _ZN2at6native12_GLOBAL__N_131cdist_backward_kernel_cuda_implIdNS1_5distsIdE3twoEEEvPT_PKS6_S9_S9_S9_S6_lllllll.num_vgpr, 26
	.set _ZN2at6native12_GLOBAL__N_131cdist_backward_kernel_cuda_implIdNS1_5distsIdE3twoEEEvPT_PKS6_S9_S9_S9_S6_lllllll.num_agpr, 0
	.set _ZN2at6native12_GLOBAL__N_131cdist_backward_kernel_cuda_implIdNS1_5distsIdE3twoEEEvPT_PKS6_S9_S9_S9_S6_lllllll.numbered_sgpr, 44
	.set _ZN2at6native12_GLOBAL__N_131cdist_backward_kernel_cuda_implIdNS1_5distsIdE3twoEEEvPT_PKS6_S9_S9_S9_S6_lllllll.num_named_barrier, 0
	.set _ZN2at6native12_GLOBAL__N_131cdist_backward_kernel_cuda_implIdNS1_5distsIdE3twoEEEvPT_PKS6_S9_S9_S9_S6_lllllll.private_seg_size, 0
	.set _ZN2at6native12_GLOBAL__N_131cdist_backward_kernel_cuda_implIdNS1_5distsIdE3twoEEEvPT_PKS6_S9_S9_S9_S6_lllllll.uses_vcc, 1
	.set _ZN2at6native12_GLOBAL__N_131cdist_backward_kernel_cuda_implIdNS1_5distsIdE3twoEEEvPT_PKS6_S9_S9_S9_S6_lllllll.uses_flat_scratch, 0
	.set _ZN2at6native12_GLOBAL__N_131cdist_backward_kernel_cuda_implIdNS1_5distsIdE3twoEEEvPT_PKS6_S9_S9_S9_S6_lllllll.has_dyn_sized_stack, 0
	.set _ZN2at6native12_GLOBAL__N_131cdist_backward_kernel_cuda_implIdNS1_5distsIdE3twoEEEvPT_PKS6_S9_S9_S9_S6_lllllll.has_recursion, 0
	.set _ZN2at6native12_GLOBAL__N_131cdist_backward_kernel_cuda_implIdNS1_5distsIdE3twoEEEvPT_PKS6_S9_S9_S9_S6_lllllll.has_indirect_call, 0
	.section	.AMDGPU.csdata,"",@progbits
; Kernel info:
; codeLenInByte = 2364
; TotalNumSgprs: 48
; NumVgprs: 26
; ScratchSize: 0
; MemoryBound: 0
; FloatMode: 240
; IeeeMode: 1
; LDSByteSize: 0 bytes/workgroup (compile time only)
; SGPRBlocks: 5
; VGPRBlocks: 6
; NumSGPRsForWavesPerEU: 48
; NumVGPRsForWavesPerEU: 26
; Occupancy: 9
; WaveLimiterHint : 0
; COMPUTE_PGM_RSRC2:SCRATCH_EN: 0
; COMPUTE_PGM_RSRC2:USER_SGPR: 6
; COMPUTE_PGM_RSRC2:TRAP_HANDLER: 0
; COMPUTE_PGM_RSRC2:TGID_X_EN: 1
; COMPUTE_PGM_RSRC2:TGID_Y_EN: 1
; COMPUTE_PGM_RSRC2:TGID_Z_EN: 1
; COMPUTE_PGM_RSRC2:TIDIG_COMP_CNT: 1
	.section	.text._ZN2at6native12_GLOBAL__N_131cdist_backward_kernel_cuda_implIdNS1_5distsIdE3infEEEvPT_PKS6_S9_S9_S9_S6_lllllll,"axG",@progbits,_ZN2at6native12_GLOBAL__N_131cdist_backward_kernel_cuda_implIdNS1_5distsIdE3infEEEvPT_PKS6_S9_S9_S9_S6_lllllll,comdat
	.globl	_ZN2at6native12_GLOBAL__N_131cdist_backward_kernel_cuda_implIdNS1_5distsIdE3infEEEvPT_PKS6_S9_S9_S9_S6_lllllll ; -- Begin function _ZN2at6native12_GLOBAL__N_131cdist_backward_kernel_cuda_implIdNS1_5distsIdE3infEEEvPT_PKS6_S9_S9_S9_S6_lllllll
	.p2align	8
	.type	_ZN2at6native12_GLOBAL__N_131cdist_backward_kernel_cuda_implIdNS1_5distsIdE3infEEEvPT_PKS6_S9_S9_S9_S6_lllllll,@function
_ZN2at6native12_GLOBAL__N_131cdist_backward_kernel_cuda_implIdNS1_5distsIdE3infEEEvPT_PKS6_S9_S9_S9_S6_lllllll: ; @_ZN2at6native12_GLOBAL__N_131cdist_backward_kernel_cuda_implIdNS1_5distsIdE3infEEEvPT_PKS6_S9_S9_S9_S6_lllllll
; %bb.0:
	s_load_dwordx2 s[0:1], s[4:5], 0x70
	s_load_dwordx8 s[12:19], s[4:5], 0x30
	s_add_u32 s2, s4, 0x68
	s_addc_u32 s3, s5, 0
	s_waitcnt lgkmcnt(0)
	s_mul_i32 s0, s0, s7
	s_add_i32 s0, s0, s8
	s_lshr_b32 s7, s1, 16
	s_mul_i32 s0, s0, s7
	v_add_u32_e32 v2, s0, v1
	v_ashrrev_i32_e32 v3, 31, v2
	v_cmp_gt_i64_e32 vcc, s[18:19], v[2:3]
	s_and_saveexec_b64 s[8:9], vcc
	s_cbranch_execz .LBB34_12
; %bb.1:
	s_and_b32 s18, s1, 0xffff
	s_load_dwordx8 s[20:27], s[4:5], 0x50
	s_mul_i32 s6, s6, s18
	v_add_u32_e32 v0, s6, v0
	v_ashrrev_i32_e32 v1, 31, v0
	v_cmp_gt_i64_e32 vcc, s[16:17], v[0:1]
	s_and_b64 exec, exec, vcc
	s_cbranch_execz .LBB34_12
; %bb.2:
	s_waitcnt lgkmcnt(0)
	v_or_b32_e32 v5, s21, v3
	v_mov_b32_e32 v4, 0
	v_cmp_ne_u64_e32 vcc, 0, v[4:5]
                                        ; implicit-def: $vgpr4_vgpr5
	s_and_saveexec_b64 s[0:1], vcc
	s_xor_b64 s[6:7], exec, s[0:1]
	s_cbranch_execz .LBB34_4
; %bb.3:
	s_ashr_i32 s8, s21, 31
	s_add_u32 s0, s20, s8
	s_mov_b32 s9, s8
	s_addc_u32 s1, s21, s8
	s_xor_b64 s[10:11], s[0:1], s[8:9]
	v_cvt_f32_u32_e32 v4, s10
	v_cvt_f32_u32_e32 v5, s11
	s_sub_u32 s9, 0, s10
	s_subb_u32 s19, 0, s11
	v_ashrrev_i32_e32 v8, 31, v3
	v_madmk_f32 v4, v5, 0x4f800000, v4
	v_rcp_f32_e32 v4, v4
	v_mul_f32_e32 v4, 0x5f7ffffc, v4
	v_mul_f32_e32 v5, 0x2f800000, v4
	v_trunc_f32_e32 v5, v5
	v_madmk_f32 v4, v5, 0xcf800000, v4
	v_cvt_u32_f32_e32 v5, v5
	v_cvt_u32_f32_e32 v4, v4
	v_readfirstlane_b32 s26, v5
	v_readfirstlane_b32 s0, v4
	s_mul_i32 s1, s9, s26
	s_mul_hi_u32 s28, s9, s0
	s_mul_i32 s27, s19, s0
	s_add_i32 s1, s28, s1
	s_add_i32 s1, s1, s27
	s_mul_i32 s29, s9, s0
	s_mul_i32 s28, s0, s1
	s_mul_hi_u32 s30, s0, s29
	s_mul_hi_u32 s27, s0, s1
	s_add_u32 s28, s30, s28
	s_addc_u32 s27, 0, s27
	s_mul_hi_u32 s31, s26, s29
	s_mul_i32 s29, s26, s29
	s_add_u32 s28, s28, s29
	s_mul_hi_u32 s30, s26, s1
	s_addc_u32 s27, s27, s31
	s_addc_u32 s28, s30, 0
	s_mul_i32 s1, s26, s1
	s_add_u32 s1, s27, s1
	s_addc_u32 s27, 0, s28
	s_add_u32 s28, s0, s1
	s_cselect_b64 s[0:1], -1, 0
	s_cmp_lg_u64 s[0:1], 0
	s_addc_u32 s26, s26, s27
	s_mul_i32 s0, s9, s26
	s_mul_hi_u32 s1, s9, s28
	s_add_i32 s0, s1, s0
	s_mul_i32 s19, s19, s28
	s_add_i32 s0, s0, s19
	s_mul_i32 s9, s9, s28
	s_mul_hi_u32 s19, s26, s9
	s_mul_i32 s27, s26, s9
	s_mul_i32 s30, s28, s0
	s_mul_hi_u32 s9, s28, s9
	s_mul_hi_u32 s29, s28, s0
	s_add_u32 s9, s9, s30
	s_addc_u32 s29, 0, s29
	s_add_u32 s9, s9, s27
	s_mul_hi_u32 s1, s26, s0
	s_addc_u32 s9, s29, s19
	s_addc_u32 s1, s1, 0
	s_mul_i32 s0, s26, s0
	s_add_u32 s0, s9, s0
	s_addc_u32 s9, 0, s1
	s_add_u32 s19, s28, s0
	s_cselect_b64 s[0:1], -1, 0
	s_cmp_lg_u64 s[0:1], 0
	v_add_co_u32_e32 v4, vcc, v2, v8
	s_addc_u32 s9, s26, s9
	v_xor_b32_e32 v9, v4, v8
	v_mad_u64_u32 v[4:5], s[0:1], v9, s9, 0
	v_mul_hi_u32 v7, v9, s19
	v_addc_co_u32_e32 v6, vcc, v3, v8, vcc
	v_xor_b32_e32 v10, v6, v8
	v_add_co_u32_e32 v11, vcc, v7, v4
	v_addc_co_u32_e32 v12, vcc, 0, v5, vcc
	v_mad_u64_u32 v[4:5], s[0:1], v10, s19, 0
	v_mad_u64_u32 v[6:7], s[0:1], v10, s9, 0
	v_add_co_u32_e32 v4, vcc, v11, v4
	v_addc_co_u32_e32 v4, vcc, v12, v5, vcc
	v_addc_co_u32_e32 v5, vcc, 0, v7, vcc
	v_add_co_u32_e32 v6, vcc, v4, v6
	v_addc_co_u32_e32 v7, vcc, 0, v5, vcc
	v_mul_lo_u32 v11, s11, v6
	v_mul_lo_u32 v12, s10, v7
	v_mad_u64_u32 v[4:5], s[0:1], s10, v6, 0
	v_add3_u32 v5, v5, v12, v11
	v_sub_u32_e32 v11, v10, v5
	v_mov_b32_e32 v12, s11
	v_sub_co_u32_e32 v4, vcc, v9, v4
	v_subb_co_u32_e64 v9, s[0:1], v11, v12, vcc
	v_subrev_co_u32_e64 v11, s[0:1], s10, v4
	v_subbrev_co_u32_e64 v9, s[0:1], 0, v9, s[0:1]
	v_cmp_le_u32_e64 s[0:1], s11, v9
	v_cndmask_b32_e64 v12, 0, -1, s[0:1]
	v_cmp_le_u32_e64 s[0:1], s10, v11
	v_cndmask_b32_e64 v11, 0, -1, s[0:1]
	v_cmp_eq_u32_e64 s[0:1], s11, v9
	v_cndmask_b32_e64 v9, v12, v11, s[0:1]
	v_add_co_u32_e64 v11, s[0:1], 2, v6
	v_subb_co_u32_e32 v5, vcc, v10, v5, vcc
	v_addc_co_u32_e64 v12, s[0:1], 0, v7, s[0:1]
	v_cmp_le_u32_e32 vcc, s11, v5
	v_add_co_u32_e64 v13, s[0:1], 1, v6
	v_cndmask_b32_e64 v10, 0, -1, vcc
	v_cmp_le_u32_e32 vcc, s10, v4
	v_addc_co_u32_e64 v14, s[0:1], 0, v7, s[0:1]
	v_cndmask_b32_e64 v4, 0, -1, vcc
	v_cmp_eq_u32_e32 vcc, s11, v5
	v_cmp_ne_u32_e64 s[0:1], 0, v9
	v_cndmask_b32_e32 v4, v10, v4, vcc
	v_cndmask_b32_e64 v9, v14, v12, s[0:1]
	v_cmp_ne_u32_e32 vcc, 0, v4
	v_cndmask_b32_e64 v5, v13, v11, s[0:1]
	v_cndmask_b32_e32 v4, v7, v9, vcc
	v_cndmask_b32_e32 v5, v6, v5, vcc
	v_xor_b32_e32 v6, s8, v8
	v_xor_b32_e32 v7, v4, v6
	;; [unrolled: 1-line block ×3, first 2 shown]
	v_sub_co_u32_e32 v4, vcc, v4, v6
	v_subb_co_u32_e32 v5, vcc, v7, v6, vcc
.LBB34_4:
	s_andn2_saveexec_b64 s[0:1], s[6:7]
	s_cbranch_execz .LBB34_6
; %bb.5:
	v_cvt_f32_u32_e32 v4, s20
	s_sub_i32 s6, 0, s20
	v_rcp_iflag_f32_e32 v4, v4
	v_mul_f32_e32 v4, 0x4f7ffffe, v4
	v_cvt_u32_f32_e32 v4, v4
	v_mul_lo_u32 v5, s6, v4
	v_mul_hi_u32 v5, v4, v5
	v_add_u32_e32 v4, v4, v5
	v_mul_hi_u32 v4, v2, v4
	v_mul_lo_u32 v5, v4, s20
	v_add_u32_e32 v6, 1, v4
	v_sub_u32_e32 v5, v2, v5
	v_subrev_u32_e32 v7, s20, v5
	v_cmp_le_u32_e32 vcc, s20, v5
	v_cndmask_b32_e32 v5, v5, v7, vcc
	v_cndmask_b32_e32 v4, v4, v6, vcc
	v_add_u32_e32 v6, 1, v4
	v_cmp_le_u32_e32 vcc, s20, v5
	v_cndmask_b32_e32 v4, v4, v6, vcc
	v_mov_b32_e32 v5, 0
.LBB34_6:
	s_or_b64 exec, exec, s[0:1]
	v_mul_lo_u32 v7, v5, s20
	v_mul_lo_u32 v8, v4, s21
	v_mad_u64_u32 v[5:6], s[0:1], v4, s20, 0
                                        ; implicit-def: $vgpr10_vgpr11
	v_add3_u32 v6, v6, v8, v7
	v_sub_co_u32_e32 v8, vcc, v2, v5
	v_subb_co_u32_e32 v12, vcc, v3, v6, vcc
	v_or_b32_e32 v7, s15, v12
	v_mov_b32_e32 v6, 0
	v_cmp_ne_u64_e32 vcc, 0, v[6:7]
	s_and_saveexec_b64 s[0:1], vcc
	s_xor_b64 s[6:7], exec, s[0:1]
	s_cbranch_execz .LBB34_8
; %bb.7:
	s_ashr_i32 s8, s15, 31
	s_add_u32 s0, s14, s8
	s_mov_b32 s9, s8
	s_addc_u32 s1, s15, s8
	s_xor_b64 s[10:11], s[0:1], s[8:9]
	v_cvt_f32_u32_e32 v6, s10
	v_cvt_f32_u32_e32 v7, s11
	s_sub_u32 s9, 0, s10
	s_subb_u32 s19, 0, s11
	v_ashrrev_i32_e32 v11, 31, v12
	v_madmk_f32 v6, v7, 0x4f800000, v6
	v_rcp_f32_e32 v6, v6
	v_mul_f32_e32 v6, 0x5f7ffffc, v6
	v_mul_f32_e32 v7, 0x2f800000, v6
	v_trunc_f32_e32 v7, v7
	v_madmk_f32 v6, v7, 0xcf800000, v6
	v_cvt_u32_f32_e32 v7, v7
	v_cvt_u32_f32_e32 v6, v6
	v_readfirstlane_b32 s20, v7
	v_readfirstlane_b32 s0, v6
	s_mul_i32 s1, s9, s20
	s_mul_hi_u32 s26, s9, s0
	s_mul_i32 s21, s19, s0
	s_add_i32 s1, s26, s1
	s_add_i32 s1, s1, s21
	s_mul_i32 s27, s9, s0
	s_mul_i32 s26, s0, s1
	s_mul_hi_u32 s28, s0, s27
	s_mul_hi_u32 s21, s0, s1
	s_add_u32 s26, s28, s26
	s_addc_u32 s21, 0, s21
	s_mul_hi_u32 s29, s20, s27
	s_mul_i32 s27, s20, s27
	s_add_u32 s26, s26, s27
	s_mul_hi_u32 s28, s20, s1
	s_addc_u32 s21, s21, s29
	s_addc_u32 s26, s28, 0
	s_mul_i32 s1, s20, s1
	s_add_u32 s1, s21, s1
	s_addc_u32 s21, 0, s26
	s_add_u32 s26, s0, s1
	s_cselect_b64 s[0:1], -1, 0
	s_cmp_lg_u64 s[0:1], 0
	s_addc_u32 s20, s20, s21
	s_mul_i32 s0, s9, s20
	s_mul_hi_u32 s1, s9, s26
	s_add_i32 s0, s1, s0
	s_mul_i32 s19, s19, s26
	s_add_i32 s0, s0, s19
	s_mul_i32 s9, s9, s26
	s_mul_hi_u32 s19, s20, s9
	s_mul_i32 s21, s20, s9
	s_mul_i32 s28, s26, s0
	s_mul_hi_u32 s9, s26, s9
	s_mul_hi_u32 s27, s26, s0
	s_add_u32 s9, s9, s28
	s_addc_u32 s27, 0, s27
	s_add_u32 s9, s9, s21
	s_mul_hi_u32 s1, s20, s0
	s_addc_u32 s9, s27, s19
	s_addc_u32 s1, s1, 0
	s_mul_i32 s0, s20, s0
	s_add_u32 s0, s9, s0
	s_addc_u32 s9, 0, s1
	s_add_u32 s19, s26, s0
	s_cselect_b64 s[0:1], -1, 0
	s_cmp_lg_u64 s[0:1], 0
	v_add_co_u32_e32 v6, vcc, v8, v11
	s_addc_u32 s9, s20, s9
	v_xor_b32_e32 v13, v6, v11
	v_mad_u64_u32 v[6:7], s[0:1], v13, s9, 0
	v_mul_hi_u32 v10, v13, s19
	v_addc_co_u32_e32 v9, vcc, v12, v11, vcc
	v_xor_b32_e32 v14, v9, v11
	v_add_co_u32_e32 v15, vcc, v10, v6
	v_addc_co_u32_e32 v16, vcc, 0, v7, vcc
	v_mad_u64_u32 v[6:7], s[0:1], v14, s19, 0
	v_mad_u64_u32 v[9:10], s[0:1], v14, s9, 0
	v_add_co_u32_e32 v6, vcc, v15, v6
	v_addc_co_u32_e32 v6, vcc, v16, v7, vcc
	v_addc_co_u32_e32 v7, vcc, 0, v10, vcc
	v_add_co_u32_e32 v9, vcc, v6, v9
	v_addc_co_u32_e32 v10, vcc, 0, v7, vcc
	v_mul_lo_u32 v15, s11, v9
	v_mul_lo_u32 v16, s10, v10
	v_mad_u64_u32 v[6:7], s[0:1], s10, v9, 0
	v_add3_u32 v7, v7, v16, v15
	v_sub_u32_e32 v15, v14, v7
	v_mov_b32_e32 v16, s11
	v_sub_co_u32_e32 v6, vcc, v13, v6
	v_subb_co_u32_e64 v13, s[0:1], v15, v16, vcc
	v_subrev_co_u32_e64 v15, s[0:1], s10, v6
	v_subbrev_co_u32_e64 v13, s[0:1], 0, v13, s[0:1]
	v_cmp_le_u32_e64 s[0:1], s11, v13
	v_cndmask_b32_e64 v16, 0, -1, s[0:1]
	v_cmp_le_u32_e64 s[0:1], s10, v15
	v_cndmask_b32_e64 v15, 0, -1, s[0:1]
	v_cmp_eq_u32_e64 s[0:1], s11, v13
	v_cndmask_b32_e64 v13, v16, v15, s[0:1]
	v_add_co_u32_e64 v15, s[0:1], 2, v9
	v_subb_co_u32_e32 v7, vcc, v14, v7, vcc
	v_addc_co_u32_e64 v16, s[0:1], 0, v10, s[0:1]
	v_cmp_le_u32_e32 vcc, s11, v7
	v_add_co_u32_e64 v17, s[0:1], 1, v9
	v_cndmask_b32_e64 v14, 0, -1, vcc
	v_cmp_le_u32_e32 vcc, s10, v6
	v_addc_co_u32_e64 v18, s[0:1], 0, v10, s[0:1]
	v_cndmask_b32_e64 v6, 0, -1, vcc
	v_cmp_eq_u32_e32 vcc, s11, v7
	v_cmp_ne_u32_e64 s[0:1], 0, v13
	v_cndmask_b32_e32 v6, v14, v6, vcc
	v_cmp_ne_u32_e32 vcc, 0, v6
	v_cndmask_b32_e64 v7, v17, v15, s[0:1]
	v_cndmask_b32_e64 v13, v18, v16, s[0:1]
	v_cndmask_b32_e32 v7, v9, v7, vcc
	v_xor_b32_e32 v9, s8, v11
	v_cndmask_b32_e32 v6, v10, v13, vcc
	v_xor_b32_e32 v7, v7, v9
	v_xor_b32_e32 v6, v6, v9
	v_sub_co_u32_e32 v10, vcc, v7, v9
	v_subb_co_u32_e32 v11, vcc, v6, v9, vcc
.LBB34_8:
	s_or_saveexec_b64 s[0:1], s[6:7]
	s_load_dword s2, s[2:3], 0x0
	s_xor_b64 exec, exec, s[0:1]
	s_cbranch_execz .LBB34_10
; %bb.9:
	v_cvt_f32_u32_e32 v6, s14
	s_sub_i32 s3, 0, s14
	v_mov_b32_e32 v11, 0
	v_rcp_iflag_f32_e32 v6, v6
	v_mul_f32_e32 v6, 0x4f7ffffe, v6
	v_cvt_u32_f32_e32 v6, v6
	v_mul_lo_u32 v7, s3, v6
	v_mul_hi_u32 v7, v6, v7
	v_add_u32_e32 v6, v6, v7
	v_mul_hi_u32 v6, v8, v6
	v_mul_lo_u32 v7, v6, s14
	v_add_u32_e32 v9, 1, v6
	v_sub_u32_e32 v7, v8, v7
	v_subrev_u32_e32 v10, s14, v7
	v_cmp_le_u32_e32 vcc, s14, v7
	v_cndmask_b32_e32 v7, v7, v10, vcc
	v_cndmask_b32_e32 v6, v6, v9, vcc
	v_add_u32_e32 v9, 1, v6
	v_cmp_le_u32_e32 vcc, s14, v7
	v_cndmask_b32_e32 v10, v6, v9, vcc
.LBB34_10:
	s_or_b64 exec, exec, s[0:1]
	s_load_dwordx8 s[36:43], s[4:5], 0x0
	s_load_dwordx2 s[0:1], s[4:5], 0x20
	v_lshlrev_b64 v[2:3], 3, v[2:3]
	v_ashrrev_i32_e32 v21, 31, v4
	v_mul_lo_u32 v17, v4, s23
	s_waitcnt lgkmcnt(0)
	v_mov_b32_e32 v6, s39
	v_add_co_u32_e32 v13, vcc, s38, v2
	v_addc_co_u32_e32 v14, vcc, v6, v3, vcc
	v_mul_lo_u32 v18, v21, s22
	v_mad_u64_u32 v[6:7], s[4:5], v4, s22, 0
	v_mov_b32_e32 v9, s1
	v_add_co_u32_e32 v15, vcc, s0, v2
	v_add3_u32 v7, v7, v17, v18
	v_addc_co_u32_e32 v16, vcc, v9, v3, vcc
	v_lshlrev_b64 v[17:18], 3, v[6:7]
	global_load_dwordx2 v[2:3], v[13:14], off
	global_load_dwordx2 v[6:7], v[15:16], off
	v_mul_lo_u32 v22, v11, s16
	v_mul_lo_u32 v23, v10, s17
	v_mad_u64_u32 v[19:20], s[0:1], v10, s16, 0
	v_mov_b32_e32 v9, s41
	v_add_co_u32_e32 v17, vcc, s40, v17
	v_add3_u32 v20, v20, v23, v22
	v_addc_co_u32_e32 v18, vcc, v9, v18, vcc
	v_lshlrev_b64 v[13:14], 3, v[19:20]
	v_mul_lo_u32 v9, s16, v5
	v_mul_lo_u32 v5, v11, s14
	;; [unrolled: 1-line block ×3, first 2 shown]
	v_mad_u64_u32 v[15:16], s[0:1], v10, s14, 0
	v_add_co_u32_e32 v13, vcc, v17, v13
	v_addc_co_u32_e32 v14, vcc, v18, v14, vcc
	v_add3_u32 v5, v16, v19, v5
	v_sub_co_u32_e32 v17, vcc, v8, v15
	v_subb_co_u32_e32 v18, vcc, v12, v5, vcc
	v_mul_lo_u32 v5, v17, s13
	v_mad_u64_u32 v[10:11], s[0:1], v17, s12, v[10:11]
	v_mul_lo_u32 v12, v18, s12
	v_mov_b32_e32 v8, 0
	v_ashrrev_i64 v[15:16], 29, v[8:9]
	v_mov_b32_e32 v19, s37
	v_add3_u32 v5, v12, v11, v5
	v_mul_lo_u32 v5, v5, s16
	v_mul_lo_u32 v11, v10, s17
	v_mad_u64_u32 v[9:10], s[0:1], v10, s16, 0
	v_add_co_u32_e32 v12, vcc, s36, v15
	v_add3_u32 v10, v10, v11, v5
	v_lshlrev_b64 v[9:10], 3, v[9:10]
	v_addc_co_u32_e32 v15, vcc, v19, v16, vcc
	v_add_co_u32_e32 v12, vcc, v12, v9
	v_addc_co_u32_e32 v15, vcc, v15, v10, vcc
	v_mul_lo_u32 v11, v4, s25
	v_mul_lo_u32 v16, v21, s24
	v_mad_u64_u32 v[9:10], s[4:5], v4, s24, 0
	s_lshl_b64 s[0:1], s[16:17], 3
	v_mov_b32_e32 v5, s1
	v_add_co_u32_e32 v4, vcc, s0, v13
	v_add3_u32 v10, v10, v11, v16
	v_mul_lo_u32 v18, v18, s16
	v_mul_lo_u32 v19, v17, s17
	v_mad_u64_u32 v[16:17], s[0:1], v17, s16, 0
	v_lshlrev_b64 v[9:10], 3, v[9:10]
	v_addc_co_u32_e32 v5, vcc, v14, v5, vcc
	v_mov_b32_e32 v11, s43
	v_add_co_u32_e32 v9, vcc, s42, v9
	v_lshlrev_b64 v[0:1], 3, v[0:1]
	v_addc_co_u32_e32 v20, vcc, v11, v10, vcc
	v_add3_u32 v17, v17, v19, v18
	v_add_co_u32_e32 v10, vcc, v13, v0
	v_lshlrev_b64 v[16:17], 3, v[16:17]
	v_addc_co_u32_e32 v11, vcc, v14, v1, vcc
	s_mul_i32 s0, s2, s18
	v_add_co_u32_e32 v16, vcc, v9, v16
	s_ashr_i32 s1, s0, 31
	v_addc_co_u32_e32 v17, vcc, v20, v17, vcc
	s_lshl_b64 s[2:3], s[0:1], 3
	s_mov_b64 s[4:5], 0
	v_mov_b32_e32 v18, 0x3ff00000
.LBB34_11:                              ; =>This Inner Loop Header: Depth=1
	v_add_co_u32_e32 v19, vcc, v16, v0
	v_addc_co_u32_e32 v20, vcc, v17, v1, vcc
	v_add_co_u32_e32 v21, vcc, v13, v0
	v_addc_co_u32_e32 v22, vcc, v14, v1, vcc
	global_load_dwordx2 v[23:24], v[21:22], off
	global_load_dwordx2 v[25:26], v[19:20], off
	s_waitcnt vmcnt(0)
	v_add_f64 v[19:20], v[23:24], -v[25:26]
	v_mov_b32_e32 v23, s3
	v_cmp_lt_f64_e64 s[0:1], 0, v[19:20]
	v_cmp_eq_f64_e64 vcc, |v[19:20]|, v[6:7]
	v_cndmask_b32_e64 v9, 0, 1, s[0:1]
	v_cmp_gt_f64_e64 s[0:1], 0, v[19:20]
	v_subbrev_co_u32_e64 v9, s[0:1], 0, v9, s[0:1]
	v_cvt_f64_i32_e32 v[19:20], v9
	v_cndmask_b32_e32 v9, 0, v18, vcc
	v_add_co_u32_e32 v10, vcc, s2, v10
	v_mul_f64 v[19:20], v[2:3], v[19:20]
	v_add_co_u32_e64 v21, s[0:1], v12, v0
	v_addc_co_u32_e32 v11, vcc, v11, v23, vcc
	v_addc_co_u32_e64 v22, s[0:1], v15, v1, s[0:1]
	v_cmp_ge_u64_e32 vcc, v[10:11], v[4:5]
	v_mul_f64 v[19:20], v[19:20], v[8:9]
	v_add_co_u32_e64 v0, s[0:1], s2, v0
	v_addc_co_u32_e64 v1, s[0:1], v1, v23, s[0:1]
	s_or_b64 s[4:5], vcc, s[4:5]
	global_store_dwordx2 v[21:22], v[19:20], off
	s_andn2_b64 exec, exec, s[4:5]
	s_cbranch_execnz .LBB34_11
.LBB34_12:
	s_endpgm
	.section	.rodata,"a",@progbits
	.p2align	6, 0x0
	.amdhsa_kernel _ZN2at6native12_GLOBAL__N_131cdist_backward_kernel_cuda_implIdNS1_5distsIdE3infEEEvPT_PKS6_S9_S9_S9_S6_lllllll
		.amdhsa_group_segment_fixed_size 0
		.amdhsa_private_segment_fixed_size 0
		.amdhsa_kernarg_size 360
		.amdhsa_user_sgpr_count 6
		.amdhsa_user_sgpr_private_segment_buffer 1
		.amdhsa_user_sgpr_dispatch_ptr 0
		.amdhsa_user_sgpr_queue_ptr 0
		.amdhsa_user_sgpr_kernarg_segment_ptr 1
		.amdhsa_user_sgpr_dispatch_id 0
		.amdhsa_user_sgpr_flat_scratch_init 0
		.amdhsa_user_sgpr_private_segment_size 0
		.amdhsa_uses_dynamic_stack 0
		.amdhsa_system_sgpr_private_segment_wavefront_offset 0
		.amdhsa_system_sgpr_workgroup_id_x 1
		.amdhsa_system_sgpr_workgroup_id_y 1
		.amdhsa_system_sgpr_workgroup_id_z 1
		.amdhsa_system_sgpr_workgroup_info 0
		.amdhsa_system_vgpr_workitem_id 1
		.amdhsa_next_free_vgpr 27
		.amdhsa_next_free_sgpr 44
		.amdhsa_reserve_vcc 1
		.amdhsa_reserve_flat_scratch 0
		.amdhsa_float_round_mode_32 0
		.amdhsa_float_round_mode_16_64 0
		.amdhsa_float_denorm_mode_32 3
		.amdhsa_float_denorm_mode_16_64 3
		.amdhsa_dx10_clamp 1
		.amdhsa_ieee_mode 1
		.amdhsa_fp16_overflow 0
		.amdhsa_exception_fp_ieee_invalid_op 0
		.amdhsa_exception_fp_denorm_src 0
		.amdhsa_exception_fp_ieee_div_zero 0
		.amdhsa_exception_fp_ieee_overflow 0
		.amdhsa_exception_fp_ieee_underflow 0
		.amdhsa_exception_fp_ieee_inexact 0
		.amdhsa_exception_int_div_zero 0
	.end_amdhsa_kernel
	.section	.text._ZN2at6native12_GLOBAL__N_131cdist_backward_kernel_cuda_implIdNS1_5distsIdE3infEEEvPT_PKS6_S9_S9_S9_S6_lllllll,"axG",@progbits,_ZN2at6native12_GLOBAL__N_131cdist_backward_kernel_cuda_implIdNS1_5distsIdE3infEEEvPT_PKS6_S9_S9_S9_S6_lllllll,comdat
.Lfunc_end34:
	.size	_ZN2at6native12_GLOBAL__N_131cdist_backward_kernel_cuda_implIdNS1_5distsIdE3infEEEvPT_PKS6_S9_S9_S9_S6_lllllll, .Lfunc_end34-_ZN2at6native12_GLOBAL__N_131cdist_backward_kernel_cuda_implIdNS1_5distsIdE3infEEEvPT_PKS6_S9_S9_S9_S6_lllllll
                                        ; -- End function
	.set _ZN2at6native12_GLOBAL__N_131cdist_backward_kernel_cuda_implIdNS1_5distsIdE3infEEEvPT_PKS6_S9_S9_S9_S6_lllllll.num_vgpr, 27
	.set _ZN2at6native12_GLOBAL__N_131cdist_backward_kernel_cuda_implIdNS1_5distsIdE3infEEEvPT_PKS6_S9_S9_S9_S6_lllllll.num_agpr, 0
	.set _ZN2at6native12_GLOBAL__N_131cdist_backward_kernel_cuda_implIdNS1_5distsIdE3infEEEvPT_PKS6_S9_S9_S9_S6_lllllll.numbered_sgpr, 44
	.set _ZN2at6native12_GLOBAL__N_131cdist_backward_kernel_cuda_implIdNS1_5distsIdE3infEEEvPT_PKS6_S9_S9_S9_S6_lllllll.num_named_barrier, 0
	.set _ZN2at6native12_GLOBAL__N_131cdist_backward_kernel_cuda_implIdNS1_5distsIdE3infEEEvPT_PKS6_S9_S9_S9_S6_lllllll.private_seg_size, 0
	.set _ZN2at6native12_GLOBAL__N_131cdist_backward_kernel_cuda_implIdNS1_5distsIdE3infEEEvPT_PKS6_S9_S9_S9_S6_lllllll.uses_vcc, 1
	.set _ZN2at6native12_GLOBAL__N_131cdist_backward_kernel_cuda_implIdNS1_5distsIdE3infEEEvPT_PKS6_S9_S9_S9_S6_lllllll.uses_flat_scratch, 0
	.set _ZN2at6native12_GLOBAL__N_131cdist_backward_kernel_cuda_implIdNS1_5distsIdE3infEEEvPT_PKS6_S9_S9_S9_S6_lllllll.has_dyn_sized_stack, 0
	.set _ZN2at6native12_GLOBAL__N_131cdist_backward_kernel_cuda_implIdNS1_5distsIdE3infEEEvPT_PKS6_S9_S9_S9_S6_lllllll.has_recursion, 0
	.set _ZN2at6native12_GLOBAL__N_131cdist_backward_kernel_cuda_implIdNS1_5distsIdE3infEEEvPT_PKS6_S9_S9_S9_S6_lllllll.has_indirect_call, 0
	.section	.AMDGPU.csdata,"",@progbits
; Kernel info:
; codeLenInByte = 2320
; TotalNumSgprs: 48
; NumVgprs: 27
; ScratchSize: 0
; MemoryBound: 0
; FloatMode: 240
; IeeeMode: 1
; LDSByteSize: 0 bytes/workgroup (compile time only)
; SGPRBlocks: 5
; VGPRBlocks: 6
; NumSGPRsForWavesPerEU: 48
; NumVGPRsForWavesPerEU: 27
; Occupancy: 9
; WaveLimiterHint : 0
; COMPUTE_PGM_RSRC2:SCRATCH_EN: 0
; COMPUTE_PGM_RSRC2:USER_SGPR: 6
; COMPUTE_PGM_RSRC2:TRAP_HANDLER: 0
; COMPUTE_PGM_RSRC2:TGID_X_EN: 1
; COMPUTE_PGM_RSRC2:TGID_Y_EN: 1
; COMPUTE_PGM_RSRC2:TGID_Z_EN: 1
; COMPUTE_PGM_RSRC2:TIDIG_COMP_CNT: 1
	.section	.text._ZN2at6native12_GLOBAL__N_131cdist_backward_kernel_cuda_implIfNS1_5distsIfE1pEEEvPT_PKS6_S9_S9_S9_S6_lllllll,"axG",@progbits,_ZN2at6native12_GLOBAL__N_131cdist_backward_kernel_cuda_implIfNS1_5distsIfE1pEEEvPT_PKS6_S9_S9_S9_S6_lllllll,comdat
	.globl	_ZN2at6native12_GLOBAL__N_131cdist_backward_kernel_cuda_implIfNS1_5distsIfE1pEEEvPT_PKS6_S9_S9_S9_S6_lllllll ; -- Begin function _ZN2at6native12_GLOBAL__N_131cdist_backward_kernel_cuda_implIfNS1_5distsIfE1pEEEvPT_PKS6_S9_S9_S9_S6_lllllll
	.p2align	8
	.type	_ZN2at6native12_GLOBAL__N_131cdist_backward_kernel_cuda_implIfNS1_5distsIfE1pEEEvPT_PKS6_S9_S9_S9_S6_lllllll,@function
_ZN2at6native12_GLOBAL__N_131cdist_backward_kernel_cuda_implIfNS1_5distsIfE1pEEEvPT_PKS6_S9_S9_S9_S6_lllllll: ; @_ZN2at6native12_GLOBAL__N_131cdist_backward_kernel_cuda_implIfNS1_5distsIfE1pEEEvPT_PKS6_S9_S9_S9_S6_lllllll
; %bb.0:
	s_load_dwordx2 s[0:1], s[4:5], 0x70
	s_load_dwordx8 s[12:19], s[4:5], 0x30
	s_add_u32 s2, s4, 0x68
	s_addc_u32 s3, s5, 0
	s_waitcnt lgkmcnt(0)
	s_mul_i32 s0, s0, s7
	s_add_i32 s0, s0, s8
	s_lshr_b32 s7, s1, 16
	s_mul_i32 s0, s0, s7
	v_add_u32_e32 v4, s0, v1
	v_ashrrev_i32_e32 v5, 31, v4
	v_cmp_gt_i64_e32 vcc, s[18:19], v[4:5]
	s_and_saveexec_b64 s[8:9], vcc
	s_cbranch_execz .LBB35_14
; %bb.1:
	s_and_b32 s18, s1, 0xffff
	s_load_dwordx8 s[20:27], s[4:5], 0x50
	s_mul_i32 s6, s6, s18
	v_add_u32_e32 v2, s6, v0
	v_ashrrev_i32_e32 v3, 31, v2
	v_cmp_gt_i64_e32 vcc, s[16:17], v[2:3]
	s_and_b64 exec, exec, vcc
	s_cbranch_execz .LBB35_14
; %bb.2:
	s_waitcnt lgkmcnt(0)
	v_or_b32_e32 v1, s21, v5
	v_mov_b32_e32 v0, 0
	v_cmp_ne_u64_e32 vcc, 0, v[0:1]
                                        ; implicit-def: $vgpr0_vgpr1
	s_and_saveexec_b64 s[0:1], vcc
	s_xor_b64 s[6:7], exec, s[0:1]
	s_cbranch_execz .LBB35_4
; %bb.3:
	s_ashr_i32 s8, s21, 31
	s_add_u32 s0, s20, s8
	s_mov_b32 s9, s8
	s_addc_u32 s1, s21, s8
	s_xor_b64 s[10:11], s[0:1], s[8:9]
	v_cvt_f32_u32_e32 v0, s10
	v_cvt_f32_u32_e32 v1, s11
	s_sub_u32 s9, 0, s10
	s_subb_u32 s19, 0, s11
	v_ashrrev_i32_e32 v8, 31, v5
	v_madmk_f32 v0, v1, 0x4f800000, v0
	v_rcp_f32_e32 v0, v0
	v_mul_f32_e32 v0, 0x5f7ffffc, v0
	v_mul_f32_e32 v1, 0x2f800000, v0
	v_trunc_f32_e32 v1, v1
	v_madmk_f32 v0, v1, 0xcf800000, v0
	v_cvt_u32_f32_e32 v1, v1
	v_cvt_u32_f32_e32 v0, v0
	v_readfirstlane_b32 s26, v1
	v_readfirstlane_b32 s0, v0
	s_mul_i32 s1, s9, s26
	s_mul_hi_u32 s28, s9, s0
	s_mul_i32 s27, s19, s0
	s_add_i32 s1, s28, s1
	s_add_i32 s1, s1, s27
	s_mul_i32 s29, s9, s0
	s_mul_i32 s28, s0, s1
	s_mul_hi_u32 s30, s0, s29
	s_mul_hi_u32 s27, s0, s1
	s_add_u32 s28, s30, s28
	s_addc_u32 s27, 0, s27
	s_mul_hi_u32 s31, s26, s29
	s_mul_i32 s29, s26, s29
	s_add_u32 s28, s28, s29
	s_mul_hi_u32 s30, s26, s1
	s_addc_u32 s27, s27, s31
	s_addc_u32 s28, s30, 0
	s_mul_i32 s1, s26, s1
	s_add_u32 s1, s27, s1
	s_addc_u32 s27, 0, s28
	s_add_u32 s28, s0, s1
	s_cselect_b64 s[0:1], -1, 0
	s_cmp_lg_u64 s[0:1], 0
	s_addc_u32 s26, s26, s27
	s_mul_i32 s0, s9, s26
	s_mul_hi_u32 s1, s9, s28
	s_add_i32 s0, s1, s0
	s_mul_i32 s19, s19, s28
	s_add_i32 s0, s0, s19
	s_mul_i32 s9, s9, s28
	s_mul_hi_u32 s19, s26, s9
	s_mul_i32 s27, s26, s9
	s_mul_i32 s30, s28, s0
	s_mul_hi_u32 s9, s28, s9
	s_mul_hi_u32 s29, s28, s0
	s_add_u32 s9, s9, s30
	s_addc_u32 s29, 0, s29
	s_add_u32 s9, s9, s27
	s_mul_hi_u32 s1, s26, s0
	s_addc_u32 s9, s29, s19
	s_addc_u32 s1, s1, 0
	s_mul_i32 s0, s26, s0
	s_add_u32 s0, s9, s0
	s_addc_u32 s9, 0, s1
	s_add_u32 s19, s28, s0
	s_cselect_b64 s[0:1], -1, 0
	s_cmp_lg_u64 s[0:1], 0
	v_add_co_u32_e32 v0, vcc, v4, v8
	s_addc_u32 s9, s26, s9
	v_xor_b32_e32 v9, v0, v8
	v_mad_u64_u32 v[0:1], s[0:1], v9, s9, 0
	v_mul_hi_u32 v7, v9, s19
	v_addc_co_u32_e32 v6, vcc, v5, v8, vcc
	v_xor_b32_e32 v10, v6, v8
	v_add_co_u32_e32 v11, vcc, v7, v0
	v_addc_co_u32_e32 v12, vcc, 0, v1, vcc
	v_mad_u64_u32 v[0:1], s[0:1], v10, s19, 0
	v_mad_u64_u32 v[6:7], s[0:1], v10, s9, 0
	v_add_co_u32_e32 v0, vcc, v11, v0
	v_addc_co_u32_e32 v0, vcc, v12, v1, vcc
	v_addc_co_u32_e32 v1, vcc, 0, v7, vcc
	v_add_co_u32_e32 v6, vcc, v0, v6
	v_addc_co_u32_e32 v7, vcc, 0, v1, vcc
	v_mul_lo_u32 v11, s11, v6
	v_mul_lo_u32 v12, s10, v7
	v_mad_u64_u32 v[0:1], s[0:1], s10, v6, 0
	v_add3_u32 v1, v1, v12, v11
	v_sub_u32_e32 v11, v10, v1
	v_mov_b32_e32 v12, s11
	v_sub_co_u32_e32 v0, vcc, v9, v0
	v_subb_co_u32_e64 v9, s[0:1], v11, v12, vcc
	v_subrev_co_u32_e64 v11, s[0:1], s10, v0
	v_subbrev_co_u32_e64 v9, s[0:1], 0, v9, s[0:1]
	v_cmp_le_u32_e64 s[0:1], s11, v9
	v_cndmask_b32_e64 v12, 0, -1, s[0:1]
	v_cmp_le_u32_e64 s[0:1], s10, v11
	v_cndmask_b32_e64 v11, 0, -1, s[0:1]
	v_cmp_eq_u32_e64 s[0:1], s11, v9
	v_cndmask_b32_e64 v9, v12, v11, s[0:1]
	v_add_co_u32_e64 v11, s[0:1], 2, v6
	v_subb_co_u32_e32 v1, vcc, v10, v1, vcc
	v_addc_co_u32_e64 v12, s[0:1], 0, v7, s[0:1]
	v_cmp_le_u32_e32 vcc, s11, v1
	v_add_co_u32_e64 v13, s[0:1], 1, v6
	v_cndmask_b32_e64 v10, 0, -1, vcc
	v_cmp_le_u32_e32 vcc, s10, v0
	v_addc_co_u32_e64 v14, s[0:1], 0, v7, s[0:1]
	v_cndmask_b32_e64 v0, 0, -1, vcc
	v_cmp_eq_u32_e32 vcc, s11, v1
	v_cmp_ne_u32_e64 s[0:1], 0, v9
	v_cndmask_b32_e32 v0, v10, v0, vcc
	v_cndmask_b32_e64 v9, v14, v12, s[0:1]
	v_cmp_ne_u32_e32 vcc, 0, v0
	v_cndmask_b32_e64 v1, v13, v11, s[0:1]
	v_cndmask_b32_e32 v0, v7, v9, vcc
	v_cndmask_b32_e32 v1, v6, v1, vcc
	v_xor_b32_e32 v6, s8, v8
	v_xor_b32_e32 v7, v0, v6
	;; [unrolled: 1-line block ×3, first 2 shown]
	v_sub_co_u32_e32 v0, vcc, v0, v6
	v_subb_co_u32_e32 v1, vcc, v7, v6, vcc
.LBB35_4:
	s_andn2_saveexec_b64 s[0:1], s[6:7]
	s_cbranch_execz .LBB35_6
; %bb.5:
	v_cvt_f32_u32_e32 v0, s20
	s_sub_i32 s6, 0, s20
	v_rcp_iflag_f32_e32 v0, v0
	v_mul_f32_e32 v0, 0x4f7ffffe, v0
	v_cvt_u32_f32_e32 v0, v0
	v_mul_lo_u32 v1, s6, v0
	v_mul_hi_u32 v1, v0, v1
	v_add_u32_e32 v0, v0, v1
	v_mul_hi_u32 v0, v4, v0
	v_mul_lo_u32 v1, v0, s20
	v_add_u32_e32 v6, 1, v0
	v_sub_u32_e32 v1, v4, v1
	v_subrev_u32_e32 v7, s20, v1
	v_cmp_le_u32_e32 vcc, s20, v1
	v_cndmask_b32_e32 v1, v1, v7, vcc
	v_cndmask_b32_e32 v0, v0, v6, vcc
	v_add_u32_e32 v6, 1, v0
	v_cmp_le_u32_e32 vcc, s20, v1
	v_cndmask_b32_e32 v0, v0, v6, vcc
	v_mov_b32_e32 v1, 0
.LBB35_6:
	s_or_b64 exec, exec, s[0:1]
	v_mul_lo_u32 v1, v1, s20
	v_mul_lo_u32 v8, v0, s21
	v_mad_u64_u32 v[6:7], s[0:1], v0, s20, 0
	v_add3_u32 v7, v7, v8, v1
	v_sub_co_u32_e32 v1, vcc, v4, v6
	v_subb_co_u32_e32 v12, vcc, v5, v7, vcc
	v_or_b32_e32 v8, s15, v12
	v_mov_b32_e32 v7, 0
	v_cmp_ne_u64_e32 vcc, 0, v[7:8]
                                        ; implicit-def: $vgpr7_vgpr8
	s_and_saveexec_b64 s[0:1], vcc
	s_xor_b64 s[6:7], exec, s[0:1]
	s_cbranch_execz .LBB35_8
; %bb.7:
	s_ashr_i32 s8, s15, 31
	s_add_u32 s0, s14, s8
	s_mov_b32 s9, s8
	s_addc_u32 s1, s15, s8
	s_xor_b64 s[10:11], s[0:1], s[8:9]
	v_cvt_f32_u32_e32 v7, s10
	v_cvt_f32_u32_e32 v8, s11
	s_sub_u32 s9, 0, s10
	s_subb_u32 s19, 0, s11
	v_ashrrev_i32_e32 v11, 31, v12
	v_madmk_f32 v7, v8, 0x4f800000, v7
	v_rcp_f32_e32 v7, v7
	v_mul_f32_e32 v7, 0x5f7ffffc, v7
	v_mul_f32_e32 v8, 0x2f800000, v7
	v_trunc_f32_e32 v8, v8
	v_madmk_f32 v7, v8, 0xcf800000, v7
	v_cvt_u32_f32_e32 v8, v8
	v_cvt_u32_f32_e32 v7, v7
	v_readfirstlane_b32 s20, v8
	v_readfirstlane_b32 s0, v7
	s_mul_i32 s1, s9, s20
	s_mul_hi_u32 s26, s9, s0
	s_mul_i32 s21, s19, s0
	s_add_i32 s1, s26, s1
	s_add_i32 s1, s1, s21
	s_mul_i32 s27, s9, s0
	s_mul_i32 s26, s0, s1
	s_mul_hi_u32 s28, s0, s27
	s_mul_hi_u32 s21, s0, s1
	s_add_u32 s26, s28, s26
	s_addc_u32 s21, 0, s21
	s_mul_hi_u32 s29, s20, s27
	s_mul_i32 s27, s20, s27
	s_add_u32 s26, s26, s27
	s_mul_hi_u32 s28, s20, s1
	s_addc_u32 s21, s21, s29
	s_addc_u32 s26, s28, 0
	s_mul_i32 s1, s20, s1
	s_add_u32 s1, s21, s1
	s_addc_u32 s21, 0, s26
	s_add_u32 s26, s0, s1
	s_cselect_b64 s[0:1], -1, 0
	s_cmp_lg_u64 s[0:1], 0
	s_addc_u32 s20, s20, s21
	s_mul_i32 s0, s9, s20
	s_mul_hi_u32 s1, s9, s26
	s_add_i32 s0, s1, s0
	s_mul_i32 s19, s19, s26
	s_add_i32 s0, s0, s19
	s_mul_i32 s9, s9, s26
	s_mul_hi_u32 s19, s20, s9
	s_mul_i32 s21, s20, s9
	s_mul_i32 s28, s26, s0
	s_mul_hi_u32 s9, s26, s9
	s_mul_hi_u32 s27, s26, s0
	s_add_u32 s9, s9, s28
	s_addc_u32 s27, 0, s27
	s_add_u32 s9, s9, s21
	s_mul_hi_u32 s1, s20, s0
	s_addc_u32 s9, s27, s19
	s_addc_u32 s1, s1, 0
	s_mul_i32 s0, s20, s0
	s_add_u32 s0, s9, s0
	s_addc_u32 s9, 0, s1
	s_add_u32 s19, s26, s0
	s_cselect_b64 s[0:1], -1, 0
	s_cmp_lg_u64 s[0:1], 0
	v_add_co_u32_e32 v7, vcc, v1, v11
	s_addc_u32 s9, s20, s9
	v_xor_b32_e32 v13, v7, v11
	v_mad_u64_u32 v[7:8], s[0:1], v13, s9, 0
	v_mul_hi_u32 v10, v13, s19
	v_addc_co_u32_e32 v9, vcc, v12, v11, vcc
	v_xor_b32_e32 v14, v9, v11
	v_add_co_u32_e32 v15, vcc, v10, v7
	v_addc_co_u32_e32 v16, vcc, 0, v8, vcc
	v_mad_u64_u32 v[7:8], s[0:1], v14, s19, 0
	v_mad_u64_u32 v[9:10], s[0:1], v14, s9, 0
	v_add_co_u32_e32 v7, vcc, v15, v7
	v_addc_co_u32_e32 v7, vcc, v16, v8, vcc
	v_addc_co_u32_e32 v8, vcc, 0, v10, vcc
	v_add_co_u32_e32 v9, vcc, v7, v9
	v_addc_co_u32_e32 v10, vcc, 0, v8, vcc
	v_mul_lo_u32 v15, s11, v9
	v_mul_lo_u32 v16, s10, v10
	v_mad_u64_u32 v[7:8], s[0:1], s10, v9, 0
	v_add3_u32 v8, v8, v16, v15
	v_sub_u32_e32 v15, v14, v8
	v_mov_b32_e32 v16, s11
	v_sub_co_u32_e32 v7, vcc, v13, v7
	v_subb_co_u32_e64 v13, s[0:1], v15, v16, vcc
	v_subrev_co_u32_e64 v15, s[0:1], s10, v7
	v_subbrev_co_u32_e64 v13, s[0:1], 0, v13, s[0:1]
	v_cmp_le_u32_e64 s[0:1], s11, v13
	v_cndmask_b32_e64 v16, 0, -1, s[0:1]
	v_cmp_le_u32_e64 s[0:1], s10, v15
	v_cndmask_b32_e64 v15, 0, -1, s[0:1]
	v_cmp_eq_u32_e64 s[0:1], s11, v13
	v_cndmask_b32_e64 v13, v16, v15, s[0:1]
	v_add_co_u32_e64 v15, s[0:1], 2, v9
	v_subb_co_u32_e32 v8, vcc, v14, v8, vcc
	v_addc_co_u32_e64 v16, s[0:1], 0, v10, s[0:1]
	v_cmp_le_u32_e32 vcc, s11, v8
	v_add_co_u32_e64 v17, s[0:1], 1, v9
	v_cndmask_b32_e64 v14, 0, -1, vcc
	v_cmp_le_u32_e32 vcc, s10, v7
	v_addc_co_u32_e64 v18, s[0:1], 0, v10, s[0:1]
	v_cndmask_b32_e64 v7, 0, -1, vcc
	v_cmp_eq_u32_e32 vcc, s11, v8
	v_cmp_ne_u32_e64 s[0:1], 0, v13
	v_cndmask_b32_e32 v7, v14, v7, vcc
	v_cndmask_b32_e64 v13, v18, v16, s[0:1]
	v_cmp_ne_u32_e32 vcc, 0, v7
	v_cndmask_b32_e64 v8, v17, v15, s[0:1]
	v_cndmask_b32_e32 v7, v10, v13, vcc
	v_cndmask_b32_e32 v8, v9, v8, vcc
	v_xor_b32_e32 v9, s8, v11
	v_xor_b32_e32 v10, v7, v9
	;; [unrolled: 1-line block ×3, first 2 shown]
	v_sub_co_u32_e32 v7, vcc, v7, v9
	v_subb_co_u32_e32 v8, vcc, v10, v9, vcc
.LBB35_8:
	s_or_saveexec_b64 s[0:1], s[6:7]
	s_load_dword s6, s[2:3], 0x0
	s_xor_b64 exec, exec, s[0:1]
	s_cbranch_execz .LBB35_10
; %bb.9:
	v_cvt_f32_u32_e32 v7, s14
	s_sub_i32 s2, 0, s14
	v_rcp_iflag_f32_e32 v7, v7
	v_mul_f32_e32 v7, 0x4f7ffffe, v7
	v_cvt_u32_f32_e32 v7, v7
	v_mul_lo_u32 v8, s2, v7
	v_mul_hi_u32 v8, v7, v8
	v_add_u32_e32 v7, v7, v8
	v_mul_hi_u32 v7, v1, v7
	v_mul_lo_u32 v8, v7, s14
	v_add_u32_e32 v9, 1, v7
	v_sub_u32_e32 v8, v1, v8
	v_subrev_u32_e32 v10, s14, v8
	v_cmp_le_u32_e32 vcc, s14, v8
	v_cndmask_b32_e32 v8, v8, v10, vcc
	v_cndmask_b32_e32 v7, v7, v9, vcc
	v_add_u32_e32 v9, 1, v7
	v_cmp_le_u32_e32 vcc, s14, v8
	v_cndmask_b32_e32 v7, v7, v9, vcc
	v_mov_b32_e32 v8, 0
.LBB35_10:
	s_or_b64 exec, exec, s[0:1]
	s_load_dwordx8 s[36:43], s[4:5], 0x0
	s_load_dwordx2 s[0:1], s[4:5], 0x20
	s_load_dword s7, s[4:5], 0x28
	v_lshlrev_b64 v[9:10], 2, v[4:5]
	v_ashrrev_i32_e32 v5, 31, v0
	v_mul_lo_u32 v17, v0, s23
	s_waitcnt lgkmcnt(0)
	v_mov_b32_e32 v4, s1
	v_add_co_u32_e32 v13, vcc, s0, v9
	v_addc_co_u32_e32 v14, vcc, v4, v10, vcc
	global_load_dword v4, v[13:14], off
	v_mul_lo_u32 v18, v5, s22
	v_mad_u64_u32 v[13:14], s[0:1], v0, s22, 0
	v_mov_b32_e32 v11, s39
	v_add_co_u32_e32 v15, vcc, s38, v9
	v_add3_u32 v14, v14, v17, v18
	v_addc_co_u32_e32 v16, vcc, v11, v10, vcc
	v_lshlrev_b64 v[9:10], 2, v[13:14]
	v_mul_lo_u32 v17, v8, s16
	v_mul_lo_u32 v18, v7, s17
	v_mad_u64_u32 v[13:14], s[0:1], v7, s16, 0
	v_mov_b32_e32 v11, s41
	v_add_co_u32_e32 v19, vcc, s40, v9
	v_add3_u32 v14, v14, v18, v17
	v_addc_co_u32_e32 v11, vcc, v11, v10, vcc
	v_lshlrev_b64 v[9:10], 2, v[13:14]
	v_mul_lo_u32 v17, v8, s14
	v_mul_lo_u32 v18, v7, s15
	v_mad_u64_u32 v[13:14], s[0:1], v7, s14, 0
	v_add_co_u32_e32 v9, vcc, v19, v9
	v_addc_co_u32_e32 v10, vcc, v11, v10, vcc
	global_load_dword v11, v[15:16], off
	v_mul_lo_u32 v15, s16, v6
	v_add3_u32 v6, v14, v18, v17
	v_sub_co_u32_e32 v16, vcc, v1, v13
	v_subb_co_u32_e32 v17, vcc, v12, v6, vcc
	v_mul_lo_u32 v1, v16, s13
	v_mul_lo_u32 v18, v17, s12
	v_mad_u64_u32 v[6:7], s[0:1], v16, s12, v[7:8]
	v_mov_b32_e32 v14, 0
	v_ashrrev_i64 v[12:13], 30, v[14:15]
	v_add3_u32 v1, v18, v7, v1
	v_mul_lo_u32 v1, v1, s16
	v_mul_lo_u32 v14, v6, s17
	v_mad_u64_u32 v[6:7], s[0:1], v6, s16, 0
	v_mov_b32_e32 v8, s37
	v_add_co_u32_e32 v12, vcc, s36, v12
	v_addc_co_u32_e32 v8, vcc, v8, v13, vcc
	v_add3_u32 v7, v7, v14, v1
	v_mul_lo_u32 v13, v0, s25
	v_mul_lo_u32 v5, v5, s24
	v_mad_u64_u32 v[0:1], s[0:1], v0, s24, 0
	v_lshlrev_b64 v[6:7], 2, v[6:7]
	v_mul_lo_u32 v14, v16, s17
	v_add_co_u32_e32 v6, vcc, v12, v6
	v_addc_co_u32_e32 v7, vcc, v8, v7, vcc
	v_add3_u32 v1, v1, v13, v5
	v_mul_lo_u32 v8, v17, s16
	v_mad_u64_u32 v[12:13], s[0:1], v16, s16, 0
	v_lshlrev_b64 v[0:1], 2, v[0:1]
	v_mov_b32_e32 v5, s43
	v_add_co_u32_e32 v15, vcc, s42, v0
	v_add3_u32 v13, v13, v14, v8
	v_addc_co_u32_e32 v5, vcc, v5, v1, vcc
	v_lshlrev_b64 v[0:1], 2, v[12:13]
	s_mov_b32 s24, 0x3f2aaaab
	v_add_co_u32_e32 v8, vcc, v15, v0
	v_addc_co_u32_e32 v12, vcc, v5, v1, vcc
	v_add_f32_e64 v0, s7, -1.0
	s_waitcnt vmcnt(1)
	v_cmp_neq_f32_e32 vcc, 1.0, v4
	v_cndmask_b32_e32 v18, 1.0, v0, vcc
	v_cmp_neq_f32_e32 vcc, 0, v18
	v_cndmask_b32_e32 v19, 1.0, v4, vcc
	v_frexp_mant_f32_e64 v0, |v19|
	v_cmp_gt_f32_e32 vcc, s24, v0
	v_cndmask_b32_e64 v1, 1.0, 2.0, vcc
	v_mul_f32_e32 v0, v0, v1
	v_add_f32_e32 v1, 1.0, v0
	v_rcp_f32_e32 v5, v1
	v_add_f32_e32 v13, -1.0, v0
	v_add_f32_e32 v14, -1.0, v1
	v_sub_f32_e32 v0, v0, v14
	v_mul_f32_e32 v14, v13, v5
	v_mul_f32_e32 v15, v1, v14
	v_fma_f32 v1, v14, v1, -v15
	v_fmac_f32_e32 v1, v14, v0
	v_add_f32_e32 v0, v15, v1
	v_sub_f32_e32 v16, v13, v0
	v_sub_f32_e32 v15, v0, v15
	;; [unrolled: 1-line block ×5, first 2 shown]
	v_add_f32_e32 v0, v1, v0
	v_add_f32_e32 v0, v16, v0
	v_mul_f32_e32 v0, v5, v0
	v_add_f32_e32 v5, v14, v0
	v_sub_f32_e32 v1, v5, v14
	v_sub_f32_e32 v14, v0, v1
	v_mul_f32_e32 v0, v5, v5
	v_fma_f32 v1, v5, v5, -v0
	v_add_f32_e32 v13, v14, v14
	v_fmac_f32_e32 v1, v5, v13
	v_add_f32_e32 v15, v0, v1
	v_mov_b32_e32 v16, 0x3e91f4c4
	v_fmac_f32_e32 v16, 0x3e76c4e1, v15
	v_mov_b32_e32 v13, 0x3ecccdef
	v_fma_f32 v16, v15, v16, v13
	v_sub_f32_e32 v0, v15, v0
	v_mul_f32_e32 v17, v5, v15
	v_sub_f32_e32 v0, v1, v0
	v_fma_f32 v20, v15, v5, -v17
	v_mul_f32_e32 v1, v15, v16
	v_fmac_f32_e32 v20, v15, v14
	v_fma_f32 v15, v15, v16, -v1
	v_fmac_f32_e32 v15, v0, v16
	v_fmac_f32_e32 v20, v0, v5
	v_add_f32_e32 v0, v1, v15
	v_sub_f32_e32 v1, v0, v1
	v_sub_f32_e32 v1, v15, v1
	v_add_f32_e32 v15, 0x3f2aaaaa, v0
	v_add_f32_e32 v16, 0xbf2aaaaa, v15
	v_sub_f32_e32 v0, v0, v16
	v_add_f32_e32 v1, 0x31739010, v1
	v_add_f32_e32 v0, v1, v0
	;; [unrolled: 1-line block ×3, first 2 shown]
	v_sub_f32_e32 v1, v15, v16
	v_add_f32_e32 v15, v0, v1
	v_cvt_f64_f32_e64 v[0:1], |v19|
	v_add_f32_e32 v21, v17, v20
	v_mul_f32_e32 v22, v21, v16
	v_fma_f32 v23, v21, v16, -v22
	v_frexp_exp_i32_f64_e32 v0, v[0:1]
	v_fmac_f32_e32 v23, v21, v15
	v_sub_f32_e32 v1, v21, v17
	v_sub_f32_e32 v1, v20, v1
	s_lshl_b64 s[0:1], s[16:17], 2
	v_fmac_f32_e32 v23, v1, v16
	v_mov_b32_e32 v1, s1
	s_mov_b32 s25, 0x3f317218
	v_subbrev_co_u32_e32 v0, vcc, 0, v0, vcc
	v_cvt_f32_i32_e32 v15, v0
	v_add_co_u32_e32 v0, vcc, s0, v9
	v_cmp_neq_f32_e64 s[0:1], 0, v4
	v_mul_f32_e32 v4, 0x3f317218, v15
	v_fma_f32 v16, v15, s25, -v4
	v_fmac_f32_e32 v16, 0xb102e308, v15
	v_add_f32_e32 v15, v4, v16
	v_sub_f32_e32 v4, v15, v4
	v_sub_f32_e32 v4, v16, v4
	v_add_f32_e32 v16, v22, v23
	v_ldexp_f32 v5, v5, 1
	v_sub_f32_e32 v17, v16, v22
	v_add_f32_e32 v20, v5, v16
	v_sub_f32_e32 v17, v23, v17
	v_sub_f32_e32 v5, v20, v5
	v_ldexp_f32 v14, v14, 1
	v_sub_f32_e32 v5, v16, v5
	v_add_f32_e32 v14, v14, v17
	v_add_f32_e32 v5, v14, v5
	;; [unrolled: 1-line block ×3, first 2 shown]
	v_sub_f32_e32 v16, v14, v20
	v_sub_f32_e32 v5, v5, v16
	v_add_f32_e32 v16, v15, v14
	v_sub_f32_e32 v17, v16, v15
	v_sub_f32_e32 v20, v16, v17
	;; [unrolled: 1-line block ×4, first 2 shown]
	v_add_f32_e32 v14, v14, v15
	v_add_f32_e32 v15, v4, v5
	v_sub_f32_e32 v17, v15, v4
	v_sub_f32_e32 v20, v15, v17
	;; [unrolled: 1-line block ×4, first 2 shown]
	v_add_f32_e32 v4, v5, v4
	v_add_f32_e32 v5, v15, v14
	;; [unrolled: 1-line block ×3, first 2 shown]
	v_sub_f32_e32 v15, v14, v16
	v_sub_f32_e32 v5, v5, v15
	v_add_f32_e32 v4, v4, v5
	v_add_f32_e32 v5, v14, v4
	v_sub_f32_e32 v14, v5, v14
	v_sub_f32_e32 v4, v4, v14
	v_mul_f32_e32 v14, v18, v5
	v_fma_f32 v5, v18, v5, -v14
	v_addc_co_u32_e32 v1, vcc, v10, v1, vcc
	v_fmac_f32_e32 v5, v18, v4
	s_movk_i32 s26, 0x204
	v_add_f32_e32 v4, v14, v5
	v_cmp_class_f32_e64 vcc, v14, s26
	v_sub_f32_e32 v15, v4, v14
	v_cndmask_b32_e32 v4, v4, v14, vcc
	s_mov_b32 s28, 0x42b17218
	v_mov_b32_e32 v14, 0x37000000
	v_cmp_eq_f32_e32 vcc, s28, v4
	v_sub_f32_e32 v5, v5, v15
	v_cndmask_b32_e32 v15, 0, v14, vcc
	v_sub_f32_e32 v16, v4, v15
	s_mov_b32 s29, 0x3fb8aa3b
	v_mul_f32_e32 v17, 0x3fb8aa3b, v16
	v_fma_f32 v20, v16, s29, -v17
	v_rndne_f32_e32 v21, v17
	v_fmac_f32_e32 v20, 0x32a5705f, v16
	v_sub_f32_e32 v17, v17, v21
	v_add_f32_e32 v17, v17, v20
	v_exp_f32_e32 v17, v17
	v_cvt_i32_f32_e32 v20, v21
	s_mov_b32 s27, 0x7f800000
	v_cmp_neq_f32_e64 vcc, |v4|, s27
	s_mov_b32 s30, 0xc2ce8ed0
	v_cndmask_b32_e32 v4, 0, v5, vcc
	v_ldexp_f32 v5, v17, v20
	v_cmp_ngt_f32_e32 vcc, s30, v16
	v_add_f32_e32 v4, v15, v4
	v_cndmask_b32_e32 v5, 0, v5, vcc
	v_mov_b32_e32 v15, 0x7f800000
	v_cmp_nlt_f32_e32 vcc, s28, v16
	v_cndmask_b32_e32 v5, v15, v5, vcc
	v_fma_f32 v4, v5, v4, v5
	v_cmp_class_f32_e64 vcc, v5, s26
	v_cndmask_b32_e32 v4, v4, v5, vcc
	v_trunc_f32_e32 v5, v18
	v_cmp_eq_f32_e32 vcc, v5, v18
	v_mul_f32_e32 v5, 0.5, v18
	v_trunc_f32_e32 v17, v5
	v_cmp_neq_f32_e64 s[2:3], v17, v5
	s_and_b64 s[2:3], vcc, s[2:3]
	v_cndmask_b32_e64 v5, 1.0, v19, s[2:3]
	s_brev_b32 s10, -2
	v_mov_b32_e32 v16, 0x7fc00000
	v_bfi_b32 v4, s10, v4, v5
	v_cmp_neq_f32_e64 s[4:5], v18, |v18|
	v_cmp_lt_f32_e64 s[8:9], |v19|, 1.0
	v_cndmask_b32_e32 v5, v16, v4, vcc
	v_cmp_gt_f32_e32 vcc, 0, v19
	s_xor_b64 s[4:5], s[4:5], s[8:9]
	v_cndmask_b32_e32 v4, v4, v5, vcc
	v_cndmask_b32_e64 v5, v15, 0, s[4:5]
	v_cmp_neq_f32_e64 vcc, |v19|, 1.0
	v_cndmask_b32_e32 v5, 1.0, v5, vcc
	v_cmp_class_f32_e64 vcc, v18, s26
	v_cndmask_b32_e32 v4, v4, v5, vcc
	v_cmp_gt_f32_e32 vcc, 0, v18
	v_lshlrev_b64 v[2:3], 2, v[2:3]
	v_cndmask_b32_e64 v5, v15, 0, vcc
	v_cndmask_b32_e64 v17, 0, v19, s[2:3]
	v_bfi_b32 v5, s10, v5, v17
	v_cmp_class_f32_e64 vcc, v19, s26
	v_cndmask_b32_e32 v20, v4, v5, vcc
	v_add_co_u32_e32 v4, vcc, v9, v2
	v_addc_co_u32_e32 v5, vcc, v10, v3, vcc
	s_mul_i32 s2, s6, s18
	v_cmp_o_f32_e32 vcc, v19, v18
	s_ashr_i32 s3, s2, 31
	v_add_f32_e64 v17, s7, -2.0
	v_cndmask_b32_e32 v18, v16, v20, vcc
	s_lshl_b64 s[16:17], s[2:3], 2
	s_mov_b64 s[18:19], 0
	s_branch .LBB35_12
.LBB35_11:                              ;   in Loop: Header=BB35_12 Depth=1
	s_or_b64 exec, exec, s[20:21]
	v_add_co_u32_e32 v20, vcc, v6, v2
	v_addc_co_u32_e32 v21, vcc, v7, v3, vcc
	v_mov_b32_e32 v22, s17
	v_add_co_u32_e32 v4, vcc, s16, v4
	v_addc_co_u32_e32 v5, vcc, v5, v22, vcc
	v_cmp_ge_u64_e32 vcc, v[4:5], v[0:1]
	global_store_dword v[20:21], v19, off
	s_or_b64 s[18:19], vcc, s[18:19]
	v_add_co_u32_e32 v2, vcc, s16, v2
	v_addc_co_u32_e32 v3, vcc, v3, v22, vcc
	s_andn2_b64 exec, exec, s[18:19]
	s_cbranch_execz .LBB35_14
.LBB35_12:                              ; =>This Inner Loop Header: Depth=1
	v_mov_b32_e32 v19, 0
	s_and_saveexec_b64 s[20:21], s[0:1]
	s_cbranch_execz .LBB35_11
; %bb.13:                               ;   in Loop: Header=BB35_12 Depth=1
	v_add_co_u32_e32 v19, vcc, v8, v2
	v_addc_co_u32_e32 v20, vcc, v12, v3, vcc
	v_add_co_u32_e32 v21, vcc, v9, v2
	v_addc_co_u32_e32 v22, vcc, v10, v3, vcc
	global_load_dword v23, v[21:22], off
	global_load_dword v24, v[19:20], off
	s_waitcnt vmcnt(0)
	v_sub_f32_e32 v19, v23, v24
	v_cmp_neq_f32_e64 vcc, |v19|, 1.0
	v_cndmask_b32_e32 v21, 1.0, v17, vcc
	v_cmp_neq_f32_e32 vcc, 0, v21
	v_cndmask_b32_e64 v20, 1.0, |v19|, vcc
	v_frexp_mant_f32_e32 v22, v20
	v_cmp_gt_f32_e32 vcc, s24, v22
	v_cndmask_b32_e64 v23, 1.0, 2.0, vcc
	v_mul_f32_e32 v22, v22, v23
	v_add_f32_e32 v23, 1.0, v22
	v_rcp_f32_e32 v25, v23
	v_add_f32_e32 v24, -1.0, v23
	v_sub_f32_e32 v24, v22, v24
	v_add_f32_e32 v22, -1.0, v22
	v_mul_f32_e32 v26, v22, v25
	v_mul_f32_e32 v27, v23, v26
	v_fma_f32 v23, v26, v23, -v27
	v_fmac_f32_e32 v23, v26, v24
	v_add_f32_e32 v24, v27, v23
	v_sub_f32_e32 v27, v24, v27
	v_sub_f32_e32 v23, v27, v23
	;; [unrolled: 1-line block ×5, first 2 shown]
	v_add_f32_e32 v22, v23, v22
	v_add_f32_e32 v22, v27, v22
	v_mul_f32_e32 v22, v25, v22
	v_add_f32_e32 v24, v26, v22
	v_sub_f32_e32 v23, v24, v26
	v_sub_f32_e32 v25, v22, v23
	v_mul_f32_e32 v22, v24, v24
	v_fma_f32 v23, v24, v24, -v22
	v_add_f32_e32 v26, v25, v25
	v_fmac_f32_e32 v23, v24, v26
	v_add_f32_e32 v26, v22, v23
	v_sub_f32_e32 v22, v26, v22
	v_sub_f32_e32 v22, v23, v22
	v_mov_b32_e32 v23, 0x3e91f4c4
	v_fmac_f32_e32 v23, 0x3e76c4e1, v26
	v_fma_f32 v23, v26, v23, v13
	v_mul_f32_e32 v27, v24, v26
	v_fma_f32 v28, v26, v24, -v27
	v_mul_f32_e32 v29, v26, v23
	v_fmac_f32_e32 v28, v26, v25
	v_fma_f32 v26, v26, v23, -v29
	v_fmac_f32_e32 v26, v22, v23
	v_fmac_f32_e32 v28, v22, v24
	v_add_f32_e32 v22, v29, v26
	v_sub_f32_e32 v23, v22, v29
	v_sub_f32_e32 v23, v26, v23
	v_add_f32_e32 v26, 0x3f2aaaaa, v22
	v_add_f32_e32 v29, 0xbf2aaaaa, v26
	v_sub_f32_e32 v22, v22, v29
	v_add_f32_e32 v23, 0x31739010, v23
	v_add_f32_e32 v22, v23, v22
	;; [unrolled: 1-line block ×3, first 2 shown]
	v_sub_f32_e32 v26, v26, v23
	v_add_f32_e32 v22, v22, v26
	v_add_f32_e32 v26, v27, v28
	v_mul_f32_e32 v29, v26, v23
	v_fma_f32 v30, v26, v23, -v29
	v_fmac_f32_e32 v30, v26, v22
	v_sub_f32_e32 v22, v26, v27
	v_sub_f32_e32 v22, v28, v22
	v_fmac_f32_e32 v30, v22, v23
	v_cvt_f64_f32_e32 v[22:23], v20
	v_ldexp_f32 v24, v24, 1
	v_ldexp_f32 v25, v25, 1
	v_cmp_gt_f32_e64 s[4:5], 1.0, v20
	v_frexp_exp_i32_f64_e32 v22, v[22:23]
	v_cmp_eq_f32_e64 s[6:7], s27, v20
	v_cmp_eq_f32_e64 s[8:9], 0, v20
	v_cmp_neq_f32_e64 s[10:11], 1.0, v20
	v_cmp_neq_f32_e64 s[34:35], v21, |v21|
	v_cmp_gt_f32_e64 s[2:3], 0, v21
	v_cmp_class_f32_e64 s[22:23], v21, s26
	s_xor_b64 s[4:5], s[34:35], s[4:5]
	v_subbrev_co_u32_e32 v22, vcc, 0, v22, vcc
	v_cvt_f32_i32_e32 v22, v22
	v_cmp_o_f32_e32 vcc, v20, v21
	s_xor_b64 s[34:35], s[2:3], s[8:9]
	s_or_b64 s[2:3], s[8:9], s[6:7]
	v_mul_f32_e32 v23, 0x3f317218, v22
	v_fma_f32 v26, v22, s25, -v23
	v_fmac_f32_e32 v26, 0xb102e308, v22
	v_add_f32_e32 v22, v23, v26
	v_sub_f32_e32 v23, v22, v23
	v_sub_f32_e32 v23, v26, v23
	v_add_f32_e32 v26, v29, v30
	v_sub_f32_e32 v27, v26, v29
	v_add_f32_e32 v28, v24, v26
	v_sub_f32_e32 v27, v30, v27
	v_sub_f32_e32 v24, v28, v24
	;; [unrolled: 1-line block ×3, first 2 shown]
	v_add_f32_e32 v25, v25, v27
	v_add_f32_e32 v24, v25, v24
	;; [unrolled: 1-line block ×3, first 2 shown]
	v_sub_f32_e32 v26, v25, v28
	v_sub_f32_e32 v24, v24, v26
	v_add_f32_e32 v26, v22, v25
	v_sub_f32_e32 v27, v26, v22
	v_sub_f32_e32 v25, v25, v27
	;; [unrolled: 1-line block ×4, first 2 shown]
	v_add_f32_e32 v22, v25, v22
	v_add_f32_e32 v25, v23, v24
	v_sub_f32_e32 v27, v25, v23
	v_sub_f32_e32 v24, v24, v27
	;; [unrolled: 1-line block ×4, first 2 shown]
	v_add_f32_e32 v22, v25, v22
	v_add_f32_e32 v23, v24, v23
	;; [unrolled: 1-line block ×3, first 2 shown]
	v_sub_f32_e32 v25, v24, v26
	v_sub_f32_e32 v22, v22, v25
	v_add_f32_e32 v22, v23, v22
	v_add_f32_e32 v23, v24, v22
	v_sub_f32_e32 v24, v23, v24
	v_sub_f32_e32 v24, v22, v24
	v_mul_f32_e32 v22, v21, v23
	v_fma_f32 v23, v21, v23, -v22
	v_fmac_f32_e32 v23, v21, v24
	v_cmp_class_f32_e64 s[12:13], v22, s26
	v_add_f32_e32 v20, v22, v23
	v_sub_f32_e32 v21, v20, v22
	v_cndmask_b32_e64 v20, v20, v22, s[12:13]
	v_cmp_eq_f32_e64 s[12:13], s28, v20
	v_sub_f32_e32 v21, v23, v21
	v_cmp_neq_f32_e64 s[14:15], |v20|, s27
	v_cndmask_b32_e64 v22, 0, v14, s[12:13]
	v_cndmask_b32_e64 v21, 0, v21, s[14:15]
	v_sub_f32_e32 v20, v20, v22
	v_add_f32_e32 v21, v22, v21
	v_mul_f32_e32 v22, 0x3fb8aa3b, v20
	v_fma_f32 v23, v20, s29, -v22
	v_cmp_ngt_f32_e64 s[12:13], s30, v20
	v_cmp_nlt_f32_e64 s[14:15], s28, v20
	v_fmac_f32_e32 v23, 0x32a5705f, v20
	v_rndne_f32_e32 v20, v22
	v_sub_f32_e32 v22, v22, v20
	v_add_f32_e32 v22, v22, v23
	v_cvt_i32_f32_e32 v20, v20
	v_exp_f32_e32 v22, v22
	v_ldexp_f32 v20, v22, v20
	v_cndmask_b32_e64 v20, 0, v20, s[12:13]
	v_cndmask_b32_e64 v20, v15, v20, s[14:15]
	;; [unrolled: 1-line block ×3, first 2 shown]
	v_fma_f32 v21, v20, v21, v20
	v_cmp_class_f32_e64 s[4:5], v20, s26
	v_cndmask_b32_e64 v20, v21, v20, s[4:5]
	v_cndmask_b32_e64 v22, 1.0, v22, s[10:11]
	v_cndmask_b32_e64 v21, v15, 0, s[34:35]
	v_cndmask_b32_e64 v20, |v20|, v22, s[22:23]
	v_cndmask_b32_e64 v20, v20, v21, s[2:3]
	v_cndmask_b32_e32 v20, v16, v20, vcc
	v_mul_f32_e32 v19, v19, v20
	v_mul_f32_e32 v19, v11, v19
	v_div_scale_f32 v20, s[2:3], v18, v18, v19
	v_rcp_f32_e32 v21, v20
	v_fma_f32 v22, -v20, v21, 1.0
	v_fmac_f32_e32 v21, v22, v21
	v_div_scale_f32 v22, vcc, v19, v18, v19
	v_mul_f32_e32 v23, v22, v21
	v_fma_f32 v24, -v20, v23, v22
	v_fmac_f32_e32 v23, v24, v21
	v_fma_f32 v20, -v20, v23, v22
	v_div_fmas_f32 v20, v20, v21, v23
	v_div_fixup_f32 v19, v20, v18, v19
	s_branch .LBB35_11
.LBB35_14:
	s_endpgm
	.section	.rodata,"a",@progbits
	.p2align	6, 0x0
	.amdhsa_kernel _ZN2at6native12_GLOBAL__N_131cdist_backward_kernel_cuda_implIfNS1_5distsIfE1pEEEvPT_PKS6_S9_S9_S9_S6_lllllll
		.amdhsa_group_segment_fixed_size 0
		.amdhsa_private_segment_fixed_size 0
		.amdhsa_kernarg_size 360
		.amdhsa_user_sgpr_count 6
		.amdhsa_user_sgpr_private_segment_buffer 1
		.amdhsa_user_sgpr_dispatch_ptr 0
		.amdhsa_user_sgpr_queue_ptr 0
		.amdhsa_user_sgpr_kernarg_segment_ptr 1
		.amdhsa_user_sgpr_dispatch_id 0
		.amdhsa_user_sgpr_flat_scratch_init 0
		.amdhsa_user_sgpr_private_segment_size 0
		.amdhsa_uses_dynamic_stack 0
		.amdhsa_system_sgpr_private_segment_wavefront_offset 0
		.amdhsa_system_sgpr_workgroup_id_x 1
		.amdhsa_system_sgpr_workgroup_id_y 1
		.amdhsa_system_sgpr_workgroup_id_z 1
		.amdhsa_system_sgpr_workgroup_info 0
		.amdhsa_system_vgpr_workitem_id 1
		.amdhsa_next_free_vgpr 31
		.amdhsa_next_free_sgpr 44
		.amdhsa_reserve_vcc 1
		.amdhsa_reserve_flat_scratch 0
		.amdhsa_float_round_mode_32 0
		.amdhsa_float_round_mode_16_64 0
		.amdhsa_float_denorm_mode_32 3
		.amdhsa_float_denorm_mode_16_64 3
		.amdhsa_dx10_clamp 1
		.amdhsa_ieee_mode 1
		.amdhsa_fp16_overflow 0
		.amdhsa_exception_fp_ieee_invalid_op 0
		.amdhsa_exception_fp_denorm_src 0
		.amdhsa_exception_fp_ieee_div_zero 0
		.amdhsa_exception_fp_ieee_overflow 0
		.amdhsa_exception_fp_ieee_underflow 0
		.amdhsa_exception_fp_ieee_inexact 0
		.amdhsa_exception_int_div_zero 0
	.end_amdhsa_kernel
	.section	.text._ZN2at6native12_GLOBAL__N_131cdist_backward_kernel_cuda_implIfNS1_5distsIfE1pEEEvPT_PKS6_S9_S9_S9_S6_lllllll,"axG",@progbits,_ZN2at6native12_GLOBAL__N_131cdist_backward_kernel_cuda_implIfNS1_5distsIfE1pEEEvPT_PKS6_S9_S9_S9_S6_lllllll,comdat
.Lfunc_end35:
	.size	_ZN2at6native12_GLOBAL__N_131cdist_backward_kernel_cuda_implIfNS1_5distsIfE1pEEEvPT_PKS6_S9_S9_S9_S6_lllllll, .Lfunc_end35-_ZN2at6native12_GLOBAL__N_131cdist_backward_kernel_cuda_implIfNS1_5distsIfE1pEEEvPT_PKS6_S9_S9_S9_S6_lllllll
                                        ; -- End function
	.set _ZN2at6native12_GLOBAL__N_131cdist_backward_kernel_cuda_implIfNS1_5distsIfE1pEEEvPT_PKS6_S9_S9_S9_S6_lllllll.num_vgpr, 31
	.set _ZN2at6native12_GLOBAL__N_131cdist_backward_kernel_cuda_implIfNS1_5distsIfE1pEEEvPT_PKS6_S9_S9_S9_S6_lllllll.num_agpr, 0
	.set _ZN2at6native12_GLOBAL__N_131cdist_backward_kernel_cuda_implIfNS1_5distsIfE1pEEEvPT_PKS6_S9_S9_S9_S6_lllllll.numbered_sgpr, 44
	.set _ZN2at6native12_GLOBAL__N_131cdist_backward_kernel_cuda_implIfNS1_5distsIfE1pEEEvPT_PKS6_S9_S9_S9_S6_lllllll.num_named_barrier, 0
	.set _ZN2at6native12_GLOBAL__N_131cdist_backward_kernel_cuda_implIfNS1_5distsIfE1pEEEvPT_PKS6_S9_S9_S9_S6_lllllll.private_seg_size, 0
	.set _ZN2at6native12_GLOBAL__N_131cdist_backward_kernel_cuda_implIfNS1_5distsIfE1pEEEvPT_PKS6_S9_S9_S9_S6_lllllll.uses_vcc, 1
	.set _ZN2at6native12_GLOBAL__N_131cdist_backward_kernel_cuda_implIfNS1_5distsIfE1pEEEvPT_PKS6_S9_S9_S9_S6_lllllll.uses_flat_scratch, 0
	.set _ZN2at6native12_GLOBAL__N_131cdist_backward_kernel_cuda_implIfNS1_5distsIfE1pEEEvPT_PKS6_S9_S9_S9_S6_lllllll.has_dyn_sized_stack, 0
	.set _ZN2at6native12_GLOBAL__N_131cdist_backward_kernel_cuda_implIfNS1_5distsIfE1pEEEvPT_PKS6_S9_S9_S9_S6_lllllll.has_recursion, 0
	.set _ZN2at6native12_GLOBAL__N_131cdist_backward_kernel_cuda_implIfNS1_5distsIfE1pEEEvPT_PKS6_S9_S9_S9_S6_lllllll.has_indirect_call, 0
	.section	.AMDGPU.csdata,"",@progbits
; Kernel info:
; codeLenInByte = 4084
; TotalNumSgprs: 48
; NumVgprs: 31
; ScratchSize: 0
; MemoryBound: 0
; FloatMode: 240
; IeeeMode: 1
; LDSByteSize: 0 bytes/workgroup (compile time only)
; SGPRBlocks: 5
; VGPRBlocks: 7
; NumSGPRsForWavesPerEU: 48
; NumVGPRsForWavesPerEU: 31
; Occupancy: 8
; WaveLimiterHint : 0
; COMPUTE_PGM_RSRC2:SCRATCH_EN: 0
; COMPUTE_PGM_RSRC2:USER_SGPR: 6
; COMPUTE_PGM_RSRC2:TRAP_HANDLER: 0
; COMPUTE_PGM_RSRC2:TGID_X_EN: 1
; COMPUTE_PGM_RSRC2:TGID_Y_EN: 1
; COMPUTE_PGM_RSRC2:TGID_Z_EN: 1
; COMPUTE_PGM_RSRC2:TIDIG_COMP_CNT: 1
	.section	.text._ZN2at6native12_GLOBAL__N_131cdist_backward_kernel_cuda_implIfNS1_5distsIfE3oneEEEvPT_PKS6_S9_S9_S9_S6_lllllll,"axG",@progbits,_ZN2at6native12_GLOBAL__N_131cdist_backward_kernel_cuda_implIfNS1_5distsIfE3oneEEEvPT_PKS6_S9_S9_S9_S6_lllllll,comdat
	.globl	_ZN2at6native12_GLOBAL__N_131cdist_backward_kernel_cuda_implIfNS1_5distsIfE3oneEEEvPT_PKS6_S9_S9_S9_S6_lllllll ; -- Begin function _ZN2at6native12_GLOBAL__N_131cdist_backward_kernel_cuda_implIfNS1_5distsIfE3oneEEEvPT_PKS6_S9_S9_S9_S6_lllllll
	.p2align	8
	.type	_ZN2at6native12_GLOBAL__N_131cdist_backward_kernel_cuda_implIfNS1_5distsIfE3oneEEEvPT_PKS6_S9_S9_S9_S6_lllllll,@function
_ZN2at6native12_GLOBAL__N_131cdist_backward_kernel_cuda_implIfNS1_5distsIfE3oneEEEvPT_PKS6_S9_S9_S9_S6_lllllll: ; @_ZN2at6native12_GLOBAL__N_131cdist_backward_kernel_cuda_implIfNS1_5distsIfE3oneEEEvPT_PKS6_S9_S9_S9_S6_lllllll
; %bb.0:
	s_load_dwordx2 s[0:1], s[4:5], 0x70
	s_load_dwordx8 s[12:19], s[4:5], 0x30
	s_add_u32 s2, s4, 0x68
	s_addc_u32 s3, s5, 0
	s_waitcnt lgkmcnt(0)
	s_mul_i32 s0, s0, s7
	s_add_i32 s0, s0, s8
	s_lshr_b32 s7, s1, 16
	s_mul_i32 s0, s0, s7
	v_add_u32_e32 v2, s0, v1
	v_ashrrev_i32_e32 v3, 31, v2
	v_cmp_gt_i64_e32 vcc, s[18:19], v[2:3]
	s_and_saveexec_b64 s[8:9], vcc
	s_cbranch_execz .LBB36_12
; %bb.1:
	s_and_b32 s18, s1, 0xffff
	s_load_dwordx8 s[20:27], s[4:5], 0x50
	s_mul_i32 s6, s6, s18
	v_add_u32_e32 v0, s6, v0
	v_ashrrev_i32_e32 v1, 31, v0
	v_cmp_gt_i64_e32 vcc, s[16:17], v[0:1]
	s_and_b64 exec, exec, vcc
	s_cbranch_execz .LBB36_12
; %bb.2:
	s_waitcnt lgkmcnt(0)
	v_or_b32_e32 v5, s21, v3
	v_mov_b32_e32 v4, 0
	v_cmp_ne_u64_e32 vcc, 0, v[4:5]
                                        ; implicit-def: $vgpr4_vgpr5
	s_and_saveexec_b64 s[0:1], vcc
	s_xor_b64 s[6:7], exec, s[0:1]
	s_cbranch_execz .LBB36_4
; %bb.3:
	s_ashr_i32 s8, s21, 31
	s_add_u32 s0, s20, s8
	s_mov_b32 s9, s8
	s_addc_u32 s1, s21, s8
	s_xor_b64 s[10:11], s[0:1], s[8:9]
	v_cvt_f32_u32_e32 v4, s10
	v_cvt_f32_u32_e32 v5, s11
	s_sub_u32 s9, 0, s10
	s_subb_u32 s19, 0, s11
	v_ashrrev_i32_e32 v8, 31, v3
	v_madmk_f32 v4, v5, 0x4f800000, v4
	v_rcp_f32_e32 v4, v4
	v_mul_f32_e32 v4, 0x5f7ffffc, v4
	v_mul_f32_e32 v5, 0x2f800000, v4
	v_trunc_f32_e32 v5, v5
	v_madmk_f32 v4, v5, 0xcf800000, v4
	v_cvt_u32_f32_e32 v5, v5
	v_cvt_u32_f32_e32 v4, v4
	v_readfirstlane_b32 s26, v5
	v_readfirstlane_b32 s0, v4
	s_mul_i32 s1, s9, s26
	s_mul_hi_u32 s28, s9, s0
	s_mul_i32 s27, s19, s0
	s_add_i32 s1, s28, s1
	s_add_i32 s1, s1, s27
	s_mul_i32 s29, s9, s0
	s_mul_i32 s28, s0, s1
	s_mul_hi_u32 s30, s0, s29
	s_mul_hi_u32 s27, s0, s1
	s_add_u32 s28, s30, s28
	s_addc_u32 s27, 0, s27
	s_mul_hi_u32 s31, s26, s29
	s_mul_i32 s29, s26, s29
	s_add_u32 s28, s28, s29
	s_mul_hi_u32 s30, s26, s1
	s_addc_u32 s27, s27, s31
	s_addc_u32 s28, s30, 0
	s_mul_i32 s1, s26, s1
	s_add_u32 s1, s27, s1
	s_addc_u32 s27, 0, s28
	s_add_u32 s28, s0, s1
	s_cselect_b64 s[0:1], -1, 0
	s_cmp_lg_u64 s[0:1], 0
	s_addc_u32 s26, s26, s27
	s_mul_i32 s0, s9, s26
	s_mul_hi_u32 s1, s9, s28
	s_add_i32 s0, s1, s0
	s_mul_i32 s19, s19, s28
	s_add_i32 s0, s0, s19
	s_mul_i32 s9, s9, s28
	s_mul_hi_u32 s19, s26, s9
	s_mul_i32 s27, s26, s9
	s_mul_i32 s30, s28, s0
	s_mul_hi_u32 s9, s28, s9
	s_mul_hi_u32 s29, s28, s0
	s_add_u32 s9, s9, s30
	s_addc_u32 s29, 0, s29
	s_add_u32 s9, s9, s27
	s_mul_hi_u32 s1, s26, s0
	s_addc_u32 s9, s29, s19
	s_addc_u32 s1, s1, 0
	s_mul_i32 s0, s26, s0
	s_add_u32 s0, s9, s0
	s_addc_u32 s9, 0, s1
	s_add_u32 s19, s28, s0
	s_cselect_b64 s[0:1], -1, 0
	s_cmp_lg_u64 s[0:1], 0
	v_add_co_u32_e32 v4, vcc, v2, v8
	s_addc_u32 s9, s26, s9
	v_xor_b32_e32 v9, v4, v8
	v_mad_u64_u32 v[4:5], s[0:1], v9, s9, 0
	v_mul_hi_u32 v7, v9, s19
	v_addc_co_u32_e32 v6, vcc, v3, v8, vcc
	v_xor_b32_e32 v10, v6, v8
	v_add_co_u32_e32 v11, vcc, v7, v4
	v_addc_co_u32_e32 v12, vcc, 0, v5, vcc
	v_mad_u64_u32 v[4:5], s[0:1], v10, s19, 0
	v_mad_u64_u32 v[6:7], s[0:1], v10, s9, 0
	v_add_co_u32_e32 v4, vcc, v11, v4
	v_addc_co_u32_e32 v4, vcc, v12, v5, vcc
	v_addc_co_u32_e32 v5, vcc, 0, v7, vcc
	v_add_co_u32_e32 v6, vcc, v4, v6
	v_addc_co_u32_e32 v7, vcc, 0, v5, vcc
	v_mul_lo_u32 v11, s11, v6
	v_mul_lo_u32 v12, s10, v7
	v_mad_u64_u32 v[4:5], s[0:1], s10, v6, 0
	v_add3_u32 v5, v5, v12, v11
	v_sub_u32_e32 v11, v10, v5
	v_mov_b32_e32 v12, s11
	v_sub_co_u32_e32 v4, vcc, v9, v4
	v_subb_co_u32_e64 v9, s[0:1], v11, v12, vcc
	v_subrev_co_u32_e64 v11, s[0:1], s10, v4
	v_subbrev_co_u32_e64 v9, s[0:1], 0, v9, s[0:1]
	v_cmp_le_u32_e64 s[0:1], s11, v9
	v_cndmask_b32_e64 v12, 0, -1, s[0:1]
	v_cmp_le_u32_e64 s[0:1], s10, v11
	v_cndmask_b32_e64 v11, 0, -1, s[0:1]
	v_cmp_eq_u32_e64 s[0:1], s11, v9
	v_cndmask_b32_e64 v9, v12, v11, s[0:1]
	v_add_co_u32_e64 v11, s[0:1], 2, v6
	v_subb_co_u32_e32 v5, vcc, v10, v5, vcc
	v_addc_co_u32_e64 v12, s[0:1], 0, v7, s[0:1]
	v_cmp_le_u32_e32 vcc, s11, v5
	v_add_co_u32_e64 v13, s[0:1], 1, v6
	v_cndmask_b32_e64 v10, 0, -1, vcc
	v_cmp_le_u32_e32 vcc, s10, v4
	v_addc_co_u32_e64 v14, s[0:1], 0, v7, s[0:1]
	v_cndmask_b32_e64 v4, 0, -1, vcc
	v_cmp_eq_u32_e32 vcc, s11, v5
	v_cmp_ne_u32_e64 s[0:1], 0, v9
	v_cndmask_b32_e32 v4, v10, v4, vcc
	v_cndmask_b32_e64 v9, v14, v12, s[0:1]
	v_cmp_ne_u32_e32 vcc, 0, v4
	v_cndmask_b32_e64 v5, v13, v11, s[0:1]
	v_cndmask_b32_e32 v4, v7, v9, vcc
	v_cndmask_b32_e32 v5, v6, v5, vcc
	v_xor_b32_e32 v6, s8, v8
	v_xor_b32_e32 v7, v4, v6
	;; [unrolled: 1-line block ×3, first 2 shown]
	v_sub_co_u32_e32 v4, vcc, v4, v6
	v_subb_co_u32_e32 v5, vcc, v7, v6, vcc
.LBB36_4:
	s_andn2_saveexec_b64 s[0:1], s[6:7]
	s_cbranch_execz .LBB36_6
; %bb.5:
	v_cvt_f32_u32_e32 v4, s20
	s_sub_i32 s6, 0, s20
	v_rcp_iflag_f32_e32 v4, v4
	v_mul_f32_e32 v4, 0x4f7ffffe, v4
	v_cvt_u32_f32_e32 v4, v4
	v_mul_lo_u32 v5, s6, v4
	v_mul_hi_u32 v5, v4, v5
	v_add_u32_e32 v4, v4, v5
	v_mul_hi_u32 v4, v2, v4
	v_mul_lo_u32 v5, v4, s20
	v_add_u32_e32 v6, 1, v4
	v_sub_u32_e32 v5, v2, v5
	v_subrev_u32_e32 v7, s20, v5
	v_cmp_le_u32_e32 vcc, s20, v5
	v_cndmask_b32_e32 v5, v5, v7, vcc
	v_cndmask_b32_e32 v4, v4, v6, vcc
	v_add_u32_e32 v6, 1, v4
	v_cmp_le_u32_e32 vcc, s20, v5
	v_cndmask_b32_e32 v4, v4, v6, vcc
	v_mov_b32_e32 v5, 0
.LBB36_6:
	s_or_b64 exec, exec, s[0:1]
	v_mul_lo_u32 v7, v5, s20
	v_mul_lo_u32 v8, v4, s21
	v_mad_u64_u32 v[5:6], s[0:1], v4, s20, 0
	v_add3_u32 v6, v6, v8, v7
	v_sub_co_u32_e32 v8, vcc, v2, v5
	v_subb_co_u32_e32 v9, vcc, v3, v6, vcc
	v_or_b32_e32 v7, s15, v9
	v_mov_b32_e32 v6, 0
	v_cmp_ne_u64_e32 vcc, 0, v[6:7]
                                        ; implicit-def: $vgpr6_vgpr7
	s_and_saveexec_b64 s[0:1], vcc
	s_xor_b64 s[6:7], exec, s[0:1]
	s_cbranch_execz .LBB36_8
; %bb.7:
	s_ashr_i32 s8, s15, 31
	s_add_u32 s0, s14, s8
	s_mov_b32 s9, s8
	s_addc_u32 s1, s15, s8
	s_xor_b64 s[10:11], s[0:1], s[8:9]
	v_cvt_f32_u32_e32 v6, s10
	v_cvt_f32_u32_e32 v7, s11
	s_sub_u32 s9, 0, s10
	s_subb_u32 s19, 0, s11
	v_ashrrev_i32_e32 v12, 31, v9
	v_madmk_f32 v6, v7, 0x4f800000, v6
	v_rcp_f32_e32 v6, v6
	v_mul_f32_e32 v6, 0x5f7ffffc, v6
	v_mul_f32_e32 v7, 0x2f800000, v6
	v_trunc_f32_e32 v7, v7
	v_madmk_f32 v6, v7, 0xcf800000, v6
	v_cvt_u32_f32_e32 v7, v7
	v_cvt_u32_f32_e32 v6, v6
	v_readfirstlane_b32 s20, v7
	v_readfirstlane_b32 s0, v6
	s_mul_i32 s1, s9, s20
	s_mul_hi_u32 s26, s9, s0
	s_mul_i32 s21, s19, s0
	s_add_i32 s1, s26, s1
	s_add_i32 s1, s1, s21
	s_mul_i32 s27, s9, s0
	s_mul_i32 s26, s0, s1
	s_mul_hi_u32 s28, s0, s27
	s_mul_hi_u32 s21, s0, s1
	s_add_u32 s26, s28, s26
	s_addc_u32 s21, 0, s21
	s_mul_hi_u32 s29, s20, s27
	s_mul_i32 s27, s20, s27
	s_add_u32 s26, s26, s27
	s_mul_hi_u32 s28, s20, s1
	s_addc_u32 s21, s21, s29
	s_addc_u32 s26, s28, 0
	s_mul_i32 s1, s20, s1
	s_add_u32 s1, s21, s1
	s_addc_u32 s21, 0, s26
	s_add_u32 s26, s0, s1
	s_cselect_b64 s[0:1], -1, 0
	s_cmp_lg_u64 s[0:1], 0
	s_addc_u32 s20, s20, s21
	s_mul_i32 s0, s9, s20
	s_mul_hi_u32 s1, s9, s26
	s_add_i32 s0, s1, s0
	s_mul_i32 s19, s19, s26
	s_add_i32 s0, s0, s19
	s_mul_i32 s9, s9, s26
	s_mul_hi_u32 s19, s20, s9
	s_mul_i32 s21, s20, s9
	s_mul_i32 s28, s26, s0
	s_mul_hi_u32 s9, s26, s9
	s_mul_hi_u32 s27, s26, s0
	s_add_u32 s9, s9, s28
	s_addc_u32 s27, 0, s27
	s_add_u32 s9, s9, s21
	s_mul_hi_u32 s1, s20, s0
	s_addc_u32 s9, s27, s19
	s_addc_u32 s1, s1, 0
	s_mul_i32 s0, s20, s0
	s_add_u32 s0, s9, s0
	s_addc_u32 s9, 0, s1
	s_add_u32 s19, s26, s0
	s_cselect_b64 s[0:1], -1, 0
	s_cmp_lg_u64 s[0:1], 0
	v_add_co_u32_e32 v6, vcc, v8, v12
	s_addc_u32 s9, s20, s9
	v_xor_b32_e32 v13, v6, v12
	v_mad_u64_u32 v[6:7], s[0:1], v13, s9, 0
	v_mul_hi_u32 v11, v13, s19
	v_addc_co_u32_e32 v10, vcc, v9, v12, vcc
	v_xor_b32_e32 v14, v10, v12
	v_add_co_u32_e32 v15, vcc, v11, v6
	v_addc_co_u32_e32 v16, vcc, 0, v7, vcc
	v_mad_u64_u32 v[6:7], s[0:1], v14, s19, 0
	v_mad_u64_u32 v[10:11], s[0:1], v14, s9, 0
	v_add_co_u32_e32 v6, vcc, v15, v6
	v_addc_co_u32_e32 v6, vcc, v16, v7, vcc
	v_addc_co_u32_e32 v7, vcc, 0, v11, vcc
	v_add_co_u32_e32 v10, vcc, v6, v10
	v_addc_co_u32_e32 v11, vcc, 0, v7, vcc
	v_mul_lo_u32 v15, s11, v10
	v_mul_lo_u32 v16, s10, v11
	v_mad_u64_u32 v[6:7], s[0:1], s10, v10, 0
	v_add3_u32 v7, v7, v16, v15
	v_sub_u32_e32 v15, v14, v7
	v_mov_b32_e32 v16, s11
	v_sub_co_u32_e32 v6, vcc, v13, v6
	v_subb_co_u32_e64 v13, s[0:1], v15, v16, vcc
	v_subrev_co_u32_e64 v15, s[0:1], s10, v6
	v_subbrev_co_u32_e64 v13, s[0:1], 0, v13, s[0:1]
	v_cmp_le_u32_e64 s[0:1], s11, v13
	v_cndmask_b32_e64 v16, 0, -1, s[0:1]
	v_cmp_le_u32_e64 s[0:1], s10, v15
	v_cndmask_b32_e64 v15, 0, -1, s[0:1]
	v_cmp_eq_u32_e64 s[0:1], s11, v13
	v_cndmask_b32_e64 v13, v16, v15, s[0:1]
	v_add_co_u32_e64 v15, s[0:1], 2, v10
	v_subb_co_u32_e32 v7, vcc, v14, v7, vcc
	v_addc_co_u32_e64 v16, s[0:1], 0, v11, s[0:1]
	v_cmp_le_u32_e32 vcc, s11, v7
	v_add_co_u32_e64 v17, s[0:1], 1, v10
	v_cndmask_b32_e64 v14, 0, -1, vcc
	v_cmp_le_u32_e32 vcc, s10, v6
	v_addc_co_u32_e64 v18, s[0:1], 0, v11, s[0:1]
	v_cndmask_b32_e64 v6, 0, -1, vcc
	v_cmp_eq_u32_e32 vcc, s11, v7
	v_cmp_ne_u32_e64 s[0:1], 0, v13
	v_cndmask_b32_e32 v6, v14, v6, vcc
	v_cndmask_b32_e64 v13, v18, v16, s[0:1]
	v_cmp_ne_u32_e32 vcc, 0, v6
	v_cndmask_b32_e64 v7, v17, v15, s[0:1]
	v_cndmask_b32_e32 v6, v11, v13, vcc
	v_cndmask_b32_e32 v7, v10, v7, vcc
	v_xor_b32_e32 v10, s8, v12
	v_xor_b32_e32 v11, v6, v10
	;; [unrolled: 1-line block ×3, first 2 shown]
	v_sub_co_u32_e32 v6, vcc, v6, v10
	v_subb_co_u32_e32 v7, vcc, v11, v10, vcc
.LBB36_8:
	s_or_saveexec_b64 s[0:1], s[6:7]
	s_load_dword s2, s[2:3], 0x0
	s_xor_b64 exec, exec, s[0:1]
	s_cbranch_execz .LBB36_10
; %bb.9:
	v_cvt_f32_u32_e32 v6, s14
	s_sub_i32 s3, 0, s14
	v_rcp_iflag_f32_e32 v6, v6
	v_mul_f32_e32 v6, 0x4f7ffffe, v6
	v_cvt_u32_f32_e32 v6, v6
	v_mul_lo_u32 v7, s3, v6
	v_mul_hi_u32 v7, v6, v7
	v_add_u32_e32 v6, v6, v7
	v_mul_hi_u32 v6, v8, v6
	v_mul_lo_u32 v7, v6, s14
	v_add_u32_e32 v10, 1, v6
	v_sub_u32_e32 v7, v8, v7
	v_subrev_u32_e32 v11, s14, v7
	v_cmp_le_u32_e32 vcc, s14, v7
	v_cndmask_b32_e32 v7, v7, v11, vcc
	v_cndmask_b32_e32 v6, v6, v10, vcc
	v_add_u32_e32 v10, 1, v6
	v_cmp_le_u32_e32 vcc, s14, v7
	v_cndmask_b32_e32 v6, v6, v10, vcc
	v_mov_b32_e32 v7, 0
.LBB36_10:
	s_or_b64 exec, exec, s[0:1]
	s_load_dwordx8 s[36:43], s[4:5], 0x0
	v_lshlrev_b64 v[2:3], 2, v[2:3]
	v_ashrrev_i32_e32 v17, 31, v4
	v_mul_lo_u32 v13, v4, s23
	v_mul_lo_u32 v14, v17, s22
	s_waitcnt lgkmcnt(0)
	v_mov_b32_e32 v10, s39
	v_add_co_u32_e32 v2, vcc, s38, v2
	v_addc_co_u32_e32 v3, vcc, v10, v3, vcc
	global_load_dword v10, v[2:3], off
	v_mad_u64_u32 v[11:12], s[0:1], v4, s22, 0
	v_mul_lo_u32 v15, v6, s17
	v_mul_lo_u32 v18, v6, s15
	v_add3_u32 v12, v12, v13, v14
	v_lshlrev_b64 v[2:3], 2, v[11:12]
	v_mul_lo_u32 v14, v7, s16
	v_mad_u64_u32 v[11:12], s[0:1], v6, s16, 0
	v_mov_b32_e32 v13, s41
	v_add_co_u32_e32 v16, vcc, s40, v2
	v_add3_u32 v12, v12, v15, v14
	v_addc_co_u32_e32 v13, vcc, v13, v3, vcc
	v_lshlrev_b64 v[2:3], 2, v[11:12]
	s_lshl_b64 s[0:1], s[16:17], 2
	v_add_co_u32_e32 v11, vcc, v16, v2
	v_addc_co_u32_e32 v12, vcc, v13, v3, vcc
	v_mov_b32_e32 v3, s1
	v_add_co_u32_e32 v2, vcc, s0, v11
	v_mul_lo_u32 v14, s16, v5
	v_mul_lo_u32 v5, v7, s14
	v_mad_u64_u32 v[15:16], s[0:1], v6, s14, 0
	v_addc_co_u32_e32 v3, vcc, v12, v3, vcc
	v_add3_u32 v5, v16, v18, v5
	v_sub_co_u32_e32 v15, vcc, v8, v15
	v_subb_co_u32_e32 v18, vcc, v9, v5, vcc
	v_mul_lo_u32 v8, v15, s13
	v_mul_lo_u32 v9, v18, s12
	v_mad_u64_u32 v[5:6], s[0:1], v15, s12, v[6:7]
	v_mov_b32_e32 v13, 0
	v_ashrrev_i64 v[13:14], 30, v[13:14]
	v_add3_u32 v6, v9, v6, v8
	v_add_co_u32_e32 v19, vcc, s36, v13
	v_mul_lo_u32 v9, v6, s16
	v_mul_lo_u32 v13, v5, s17
	v_mad_u64_u32 v[7:8], s[0:1], v5, s16, 0
	v_mov_b32_e32 v16, s37
	v_lshlrev_b64 v[0:1], 2, v[0:1]
	v_addc_co_u32_e32 v16, vcc, v16, v14, vcc
	v_add3_u32 v8, v8, v13, v9
	v_mul_lo_u32 v9, v4, s25
	v_mul_lo_u32 v17, v17, s24
	v_mad_u64_u32 v[13:14], s[0:1], v4, s24, 0
	v_add_co_u32_e32 v5, vcc, v11, v0
	v_lshlrev_b64 v[7:8], 2, v[7:8]
	v_addc_co_u32_e32 v6, vcc, v12, v1, vcc
	v_add_co_u32_e32 v4, vcc, v19, v7
	v_add3_u32 v14, v14, v9, v17
	v_addc_co_u32_e32 v7, vcc, v16, v8, vcc
	v_lshlrev_b64 v[8:9], 2, v[13:14]
	v_mul_lo_u32 v17, v18, s16
	v_mul_lo_u32 v18, v15, s17
	v_mad_u64_u32 v[13:14], s[0:1], v15, s16, 0
	v_mov_b32_e32 v16, s43
	v_add_co_u32_e32 v15, vcc, s42, v8
	v_add3_u32 v14, v14, v18, v17
	v_addc_co_u32_e32 v16, vcc, v16, v9, vcc
	v_lshlrev_b64 v[8:9], 2, v[13:14]
	s_mul_i32 s0, s2, s18
	v_add_co_u32_e32 v8, vcc, v15, v8
	s_ashr_i32 s1, s0, 31
	v_addc_co_u32_e32 v9, vcc, v16, v9, vcc
	s_lshl_b64 s[2:3], s[0:1], 2
	s_mov_b64 s[4:5], 0
.LBB36_11:                              ; =>This Inner Loop Header: Depth=1
	v_add_co_u32_e32 v13, vcc, v8, v0
	v_addc_co_u32_e32 v14, vcc, v9, v1, vcc
	v_add_co_u32_e32 v15, vcc, v11, v0
	v_addc_co_u32_e32 v16, vcc, v12, v1, vcc
	global_load_dword v17, v[15:16], off
	global_load_dword v18, v[13:14], off
	v_add_co_u32_e32 v13, vcc, v4, v0
	v_addc_co_u32_e32 v14, vcc, v7, v1, vcc
	v_mov_b32_e32 v15, s3
	v_add_co_u32_e32 v0, vcc, s2, v0
	v_add_co_u32_e64 v5, s[0:1], s2, v5
	v_addc_co_u32_e64 v6, s[0:1], v6, v15, s[0:1]
	v_addc_co_u32_e32 v1, vcc, v1, v15, vcc
	s_waitcnt vmcnt(0)
	v_sub_f32_e32 v15, v17, v18
	v_cmp_lt_f32_e32 vcc, 0, v15
	v_cndmask_b32_e64 v16, 0, 1, vcc
	v_cmp_gt_f32_e32 vcc, 0, v15
	v_subbrev_co_u32_e32 v15, vcc, 0, v16, vcc
	v_cvt_f32_i32_e32 v15, v15
	v_cmp_ge_u64_e32 vcc, v[5:6], v[2:3]
	s_or_b64 s[4:5], vcc, s[4:5]
	v_mul_f32_e32 v15, v10, v15
	global_store_dword v[13:14], v15, off
	s_andn2_b64 exec, exec, s[4:5]
	s_cbranch_execnz .LBB36_11
.LBB36_12:
	s_endpgm
	.section	.rodata,"a",@progbits
	.p2align	6, 0x0
	.amdhsa_kernel _ZN2at6native12_GLOBAL__N_131cdist_backward_kernel_cuda_implIfNS1_5distsIfE3oneEEEvPT_PKS6_S9_S9_S9_S6_lllllll
		.amdhsa_group_segment_fixed_size 0
		.amdhsa_private_segment_fixed_size 0
		.amdhsa_kernarg_size 360
		.amdhsa_user_sgpr_count 6
		.amdhsa_user_sgpr_private_segment_buffer 1
		.amdhsa_user_sgpr_dispatch_ptr 0
		.amdhsa_user_sgpr_queue_ptr 0
		.amdhsa_user_sgpr_kernarg_segment_ptr 1
		.amdhsa_user_sgpr_dispatch_id 0
		.amdhsa_user_sgpr_flat_scratch_init 0
		.amdhsa_user_sgpr_private_segment_size 0
		.amdhsa_uses_dynamic_stack 0
		.amdhsa_system_sgpr_private_segment_wavefront_offset 0
		.amdhsa_system_sgpr_workgroup_id_x 1
		.amdhsa_system_sgpr_workgroup_id_y 1
		.amdhsa_system_sgpr_workgroup_id_z 1
		.amdhsa_system_sgpr_workgroup_info 0
		.amdhsa_system_vgpr_workitem_id 1
		.amdhsa_next_free_vgpr 20
		.amdhsa_next_free_sgpr 44
		.amdhsa_reserve_vcc 1
		.amdhsa_reserve_flat_scratch 0
		.amdhsa_float_round_mode_32 0
		.amdhsa_float_round_mode_16_64 0
		.amdhsa_float_denorm_mode_32 3
		.amdhsa_float_denorm_mode_16_64 3
		.amdhsa_dx10_clamp 1
		.amdhsa_ieee_mode 1
		.amdhsa_fp16_overflow 0
		.amdhsa_exception_fp_ieee_invalid_op 0
		.amdhsa_exception_fp_denorm_src 0
		.amdhsa_exception_fp_ieee_div_zero 0
		.amdhsa_exception_fp_ieee_overflow 0
		.amdhsa_exception_fp_ieee_underflow 0
		.amdhsa_exception_fp_ieee_inexact 0
		.amdhsa_exception_int_div_zero 0
	.end_amdhsa_kernel
	.section	.text._ZN2at6native12_GLOBAL__N_131cdist_backward_kernel_cuda_implIfNS1_5distsIfE3oneEEEvPT_PKS6_S9_S9_S9_S6_lllllll,"axG",@progbits,_ZN2at6native12_GLOBAL__N_131cdist_backward_kernel_cuda_implIfNS1_5distsIfE3oneEEEvPT_PKS6_S9_S9_S9_S6_lllllll,comdat
.Lfunc_end36:
	.size	_ZN2at6native12_GLOBAL__N_131cdist_backward_kernel_cuda_implIfNS1_5distsIfE3oneEEEvPT_PKS6_S9_S9_S9_S6_lllllll, .Lfunc_end36-_ZN2at6native12_GLOBAL__N_131cdist_backward_kernel_cuda_implIfNS1_5distsIfE3oneEEEvPT_PKS6_S9_S9_S9_S6_lllllll
                                        ; -- End function
	.set _ZN2at6native12_GLOBAL__N_131cdist_backward_kernel_cuda_implIfNS1_5distsIfE3oneEEEvPT_PKS6_S9_S9_S9_S6_lllllll.num_vgpr, 20
	.set _ZN2at6native12_GLOBAL__N_131cdist_backward_kernel_cuda_implIfNS1_5distsIfE3oneEEEvPT_PKS6_S9_S9_S9_S6_lllllll.num_agpr, 0
	.set _ZN2at6native12_GLOBAL__N_131cdist_backward_kernel_cuda_implIfNS1_5distsIfE3oneEEEvPT_PKS6_S9_S9_S9_S6_lllllll.numbered_sgpr, 44
	.set _ZN2at6native12_GLOBAL__N_131cdist_backward_kernel_cuda_implIfNS1_5distsIfE3oneEEEvPT_PKS6_S9_S9_S9_S6_lllllll.num_named_barrier, 0
	.set _ZN2at6native12_GLOBAL__N_131cdist_backward_kernel_cuda_implIfNS1_5distsIfE3oneEEEvPT_PKS6_S9_S9_S9_S6_lllllll.private_seg_size, 0
	.set _ZN2at6native12_GLOBAL__N_131cdist_backward_kernel_cuda_implIfNS1_5distsIfE3oneEEEvPT_PKS6_S9_S9_S9_S6_lllllll.uses_vcc, 1
	.set _ZN2at6native12_GLOBAL__N_131cdist_backward_kernel_cuda_implIfNS1_5distsIfE3oneEEEvPT_PKS6_S9_S9_S9_S6_lllllll.uses_flat_scratch, 0
	.set _ZN2at6native12_GLOBAL__N_131cdist_backward_kernel_cuda_implIfNS1_5distsIfE3oneEEEvPT_PKS6_S9_S9_S9_S6_lllllll.has_dyn_sized_stack, 0
	.set _ZN2at6native12_GLOBAL__N_131cdist_backward_kernel_cuda_implIfNS1_5distsIfE3oneEEEvPT_PKS6_S9_S9_S9_S6_lllllll.has_recursion, 0
	.set _ZN2at6native12_GLOBAL__N_131cdist_backward_kernel_cuda_implIfNS1_5distsIfE3oneEEEvPT_PKS6_S9_S9_S9_S6_lllllll.has_indirect_call, 0
	.section	.AMDGPU.csdata,"",@progbits
; Kernel info:
; codeLenInByte = 2236
; TotalNumSgprs: 48
; NumVgprs: 20
; ScratchSize: 0
; MemoryBound: 0
; FloatMode: 240
; IeeeMode: 1
; LDSByteSize: 0 bytes/workgroup (compile time only)
; SGPRBlocks: 5
; VGPRBlocks: 4
; NumSGPRsForWavesPerEU: 48
; NumVGPRsForWavesPerEU: 20
; Occupancy: 10
; WaveLimiterHint : 0
; COMPUTE_PGM_RSRC2:SCRATCH_EN: 0
; COMPUTE_PGM_RSRC2:USER_SGPR: 6
; COMPUTE_PGM_RSRC2:TRAP_HANDLER: 0
; COMPUTE_PGM_RSRC2:TGID_X_EN: 1
; COMPUTE_PGM_RSRC2:TGID_Y_EN: 1
; COMPUTE_PGM_RSRC2:TGID_Z_EN: 1
; COMPUTE_PGM_RSRC2:TIDIG_COMP_CNT: 1
	.section	.text._ZN2at6native12_GLOBAL__N_131cdist_backward_kernel_cuda_implIfNS1_5distsIfE6lt_twoEEEvPT_PKS6_S9_S9_S9_S6_lllllll,"axG",@progbits,_ZN2at6native12_GLOBAL__N_131cdist_backward_kernel_cuda_implIfNS1_5distsIfE6lt_twoEEEvPT_PKS6_S9_S9_S9_S6_lllllll,comdat
	.globl	_ZN2at6native12_GLOBAL__N_131cdist_backward_kernel_cuda_implIfNS1_5distsIfE6lt_twoEEEvPT_PKS6_S9_S9_S9_S6_lllllll ; -- Begin function _ZN2at6native12_GLOBAL__N_131cdist_backward_kernel_cuda_implIfNS1_5distsIfE6lt_twoEEEvPT_PKS6_S9_S9_S9_S6_lllllll
	.p2align	8
	.type	_ZN2at6native12_GLOBAL__N_131cdist_backward_kernel_cuda_implIfNS1_5distsIfE6lt_twoEEEvPT_PKS6_S9_S9_S9_S6_lllllll,@function
_ZN2at6native12_GLOBAL__N_131cdist_backward_kernel_cuda_implIfNS1_5distsIfE6lt_twoEEEvPT_PKS6_S9_S9_S9_S6_lllllll: ; @_ZN2at6native12_GLOBAL__N_131cdist_backward_kernel_cuda_implIfNS1_5distsIfE6lt_twoEEEvPT_PKS6_S9_S9_S9_S6_lllllll
; %bb.0:
	s_load_dwordx2 s[0:1], s[4:5], 0x70
	s_load_dwordx8 s[12:19], s[4:5], 0x30
	s_add_u32 s2, s4, 0x68
	s_addc_u32 s3, s5, 0
	s_waitcnt lgkmcnt(0)
	s_mul_i32 s0, s0, s7
	s_add_i32 s0, s0, s8
	s_lshr_b32 s7, s1, 16
	s_mul_i32 s0, s0, s7
	v_add_u32_e32 v2, s0, v1
	v_ashrrev_i32_e32 v3, 31, v2
	v_cmp_gt_i64_e32 vcc, s[18:19], v[2:3]
	s_and_saveexec_b64 s[8:9], vcc
	s_cbranch_execz .LBB37_14
; %bb.1:
	s_and_b32 s18, s1, 0xffff
	s_load_dwordx8 s[20:27], s[4:5], 0x50
	s_mul_i32 s6, s6, s18
	v_add_u32_e32 v0, s6, v0
	v_ashrrev_i32_e32 v1, 31, v0
	v_cmp_gt_i64_e32 vcc, s[16:17], v[0:1]
	s_and_b64 exec, exec, vcc
	s_cbranch_execz .LBB37_14
; %bb.2:
	s_waitcnt lgkmcnt(0)
	v_or_b32_e32 v5, s21, v3
	v_mov_b32_e32 v4, 0
	v_cmp_ne_u64_e32 vcc, 0, v[4:5]
                                        ; implicit-def: $vgpr4_vgpr5
	s_and_saveexec_b64 s[0:1], vcc
	s_xor_b64 s[6:7], exec, s[0:1]
	s_cbranch_execz .LBB37_4
; %bb.3:
	s_ashr_i32 s8, s21, 31
	s_add_u32 s0, s20, s8
	s_mov_b32 s9, s8
	s_addc_u32 s1, s21, s8
	s_xor_b64 s[10:11], s[0:1], s[8:9]
	v_cvt_f32_u32_e32 v4, s10
	v_cvt_f32_u32_e32 v5, s11
	s_sub_u32 s9, 0, s10
	s_subb_u32 s19, 0, s11
	v_ashrrev_i32_e32 v8, 31, v3
	v_madmk_f32 v4, v5, 0x4f800000, v4
	v_rcp_f32_e32 v4, v4
	v_mul_f32_e32 v4, 0x5f7ffffc, v4
	v_mul_f32_e32 v5, 0x2f800000, v4
	v_trunc_f32_e32 v5, v5
	v_madmk_f32 v4, v5, 0xcf800000, v4
	v_cvt_u32_f32_e32 v5, v5
	v_cvt_u32_f32_e32 v4, v4
	v_readfirstlane_b32 s26, v5
	v_readfirstlane_b32 s0, v4
	s_mul_i32 s1, s9, s26
	s_mul_hi_u32 s28, s9, s0
	s_mul_i32 s27, s19, s0
	s_add_i32 s1, s28, s1
	s_add_i32 s1, s1, s27
	s_mul_i32 s29, s9, s0
	s_mul_i32 s28, s0, s1
	s_mul_hi_u32 s30, s0, s29
	s_mul_hi_u32 s27, s0, s1
	s_add_u32 s28, s30, s28
	s_addc_u32 s27, 0, s27
	s_mul_hi_u32 s31, s26, s29
	s_mul_i32 s29, s26, s29
	s_add_u32 s28, s28, s29
	s_mul_hi_u32 s30, s26, s1
	s_addc_u32 s27, s27, s31
	s_addc_u32 s28, s30, 0
	s_mul_i32 s1, s26, s1
	s_add_u32 s1, s27, s1
	s_addc_u32 s27, 0, s28
	s_add_u32 s28, s0, s1
	s_cselect_b64 s[0:1], -1, 0
	s_cmp_lg_u64 s[0:1], 0
	s_addc_u32 s26, s26, s27
	s_mul_i32 s0, s9, s26
	s_mul_hi_u32 s1, s9, s28
	s_add_i32 s0, s1, s0
	s_mul_i32 s19, s19, s28
	s_add_i32 s0, s0, s19
	s_mul_i32 s9, s9, s28
	s_mul_hi_u32 s19, s26, s9
	s_mul_i32 s27, s26, s9
	s_mul_i32 s30, s28, s0
	s_mul_hi_u32 s9, s28, s9
	s_mul_hi_u32 s29, s28, s0
	s_add_u32 s9, s9, s30
	s_addc_u32 s29, 0, s29
	s_add_u32 s9, s9, s27
	s_mul_hi_u32 s1, s26, s0
	s_addc_u32 s9, s29, s19
	s_addc_u32 s1, s1, 0
	s_mul_i32 s0, s26, s0
	s_add_u32 s0, s9, s0
	s_addc_u32 s9, 0, s1
	s_add_u32 s19, s28, s0
	s_cselect_b64 s[0:1], -1, 0
	s_cmp_lg_u64 s[0:1], 0
	v_add_co_u32_e32 v4, vcc, v2, v8
	s_addc_u32 s9, s26, s9
	v_xor_b32_e32 v9, v4, v8
	v_mad_u64_u32 v[4:5], s[0:1], v9, s9, 0
	v_mul_hi_u32 v7, v9, s19
	v_addc_co_u32_e32 v6, vcc, v3, v8, vcc
	v_xor_b32_e32 v10, v6, v8
	v_add_co_u32_e32 v11, vcc, v7, v4
	v_addc_co_u32_e32 v12, vcc, 0, v5, vcc
	v_mad_u64_u32 v[4:5], s[0:1], v10, s19, 0
	v_mad_u64_u32 v[6:7], s[0:1], v10, s9, 0
	v_add_co_u32_e32 v4, vcc, v11, v4
	v_addc_co_u32_e32 v4, vcc, v12, v5, vcc
	v_addc_co_u32_e32 v5, vcc, 0, v7, vcc
	v_add_co_u32_e32 v6, vcc, v4, v6
	v_addc_co_u32_e32 v7, vcc, 0, v5, vcc
	v_mul_lo_u32 v11, s11, v6
	v_mul_lo_u32 v12, s10, v7
	v_mad_u64_u32 v[4:5], s[0:1], s10, v6, 0
	v_add3_u32 v5, v5, v12, v11
	v_sub_u32_e32 v11, v10, v5
	v_mov_b32_e32 v12, s11
	v_sub_co_u32_e32 v4, vcc, v9, v4
	v_subb_co_u32_e64 v9, s[0:1], v11, v12, vcc
	v_subrev_co_u32_e64 v11, s[0:1], s10, v4
	v_subbrev_co_u32_e64 v9, s[0:1], 0, v9, s[0:1]
	v_cmp_le_u32_e64 s[0:1], s11, v9
	v_cndmask_b32_e64 v12, 0, -1, s[0:1]
	v_cmp_le_u32_e64 s[0:1], s10, v11
	v_cndmask_b32_e64 v11, 0, -1, s[0:1]
	v_cmp_eq_u32_e64 s[0:1], s11, v9
	v_cndmask_b32_e64 v9, v12, v11, s[0:1]
	v_add_co_u32_e64 v11, s[0:1], 2, v6
	v_subb_co_u32_e32 v5, vcc, v10, v5, vcc
	v_addc_co_u32_e64 v12, s[0:1], 0, v7, s[0:1]
	v_cmp_le_u32_e32 vcc, s11, v5
	v_add_co_u32_e64 v13, s[0:1], 1, v6
	v_cndmask_b32_e64 v10, 0, -1, vcc
	v_cmp_le_u32_e32 vcc, s10, v4
	v_addc_co_u32_e64 v14, s[0:1], 0, v7, s[0:1]
	v_cndmask_b32_e64 v4, 0, -1, vcc
	v_cmp_eq_u32_e32 vcc, s11, v5
	v_cmp_ne_u32_e64 s[0:1], 0, v9
	v_cndmask_b32_e32 v4, v10, v4, vcc
	v_cndmask_b32_e64 v9, v14, v12, s[0:1]
	v_cmp_ne_u32_e32 vcc, 0, v4
	v_cndmask_b32_e64 v5, v13, v11, s[0:1]
	v_cndmask_b32_e32 v4, v7, v9, vcc
	v_cndmask_b32_e32 v5, v6, v5, vcc
	v_xor_b32_e32 v6, s8, v8
	v_xor_b32_e32 v7, v4, v6
	;; [unrolled: 1-line block ×3, first 2 shown]
	v_sub_co_u32_e32 v4, vcc, v4, v6
	v_subb_co_u32_e32 v5, vcc, v7, v6, vcc
.LBB37_4:
	s_andn2_saveexec_b64 s[0:1], s[6:7]
	s_cbranch_execz .LBB37_6
; %bb.5:
	v_cvt_f32_u32_e32 v4, s20
	s_sub_i32 s6, 0, s20
	v_rcp_iflag_f32_e32 v4, v4
	v_mul_f32_e32 v4, 0x4f7ffffe, v4
	v_cvt_u32_f32_e32 v4, v4
	v_mul_lo_u32 v5, s6, v4
	v_mul_hi_u32 v5, v4, v5
	v_add_u32_e32 v4, v4, v5
	v_mul_hi_u32 v4, v2, v4
	v_mul_lo_u32 v5, v4, s20
	v_add_u32_e32 v6, 1, v4
	v_sub_u32_e32 v5, v2, v5
	v_subrev_u32_e32 v7, s20, v5
	v_cmp_le_u32_e32 vcc, s20, v5
	v_cndmask_b32_e32 v5, v5, v7, vcc
	v_cndmask_b32_e32 v4, v4, v6, vcc
	v_add_u32_e32 v6, 1, v4
	v_cmp_le_u32_e32 vcc, s20, v5
	v_cndmask_b32_e32 v4, v4, v6, vcc
	v_mov_b32_e32 v5, 0
.LBB37_6:
	s_or_b64 exec, exec, s[0:1]
	v_mul_lo_u32 v7, v5, s20
	v_mul_lo_u32 v8, v4, s21
	v_mad_u64_u32 v[5:6], s[0:1], v4, s20, 0
	v_add3_u32 v6, v6, v8, v7
	v_sub_co_u32_e32 v11, vcc, v2, v5
	v_subb_co_u32_e32 v12, vcc, v3, v6, vcc
	v_or_b32_e32 v7, s15, v12
	v_mov_b32_e32 v6, 0
	v_cmp_ne_u64_e32 vcc, 0, v[6:7]
                                        ; implicit-def: $vgpr6_vgpr7
	s_and_saveexec_b64 s[0:1], vcc
	s_xor_b64 s[6:7], exec, s[0:1]
	s_cbranch_execz .LBB37_8
; %bb.7:
	s_ashr_i32 s8, s15, 31
	s_add_u32 s0, s14, s8
	s_mov_b32 s9, s8
	s_addc_u32 s1, s15, s8
	s_xor_b64 s[10:11], s[0:1], s[8:9]
	v_cvt_f32_u32_e32 v6, s10
	v_cvt_f32_u32_e32 v7, s11
	s_sub_u32 s9, 0, s10
	s_subb_u32 s19, 0, s11
	v_ashrrev_i32_e32 v10, 31, v12
	v_madmk_f32 v6, v7, 0x4f800000, v6
	v_rcp_f32_e32 v6, v6
	v_mul_f32_e32 v6, 0x5f7ffffc, v6
	v_mul_f32_e32 v7, 0x2f800000, v6
	v_trunc_f32_e32 v7, v7
	v_madmk_f32 v6, v7, 0xcf800000, v6
	v_cvt_u32_f32_e32 v7, v7
	v_cvt_u32_f32_e32 v6, v6
	v_readfirstlane_b32 s20, v7
	v_readfirstlane_b32 s0, v6
	s_mul_i32 s1, s9, s20
	s_mul_hi_u32 s26, s9, s0
	s_mul_i32 s21, s19, s0
	s_add_i32 s1, s26, s1
	s_add_i32 s1, s1, s21
	s_mul_i32 s27, s9, s0
	s_mul_i32 s26, s0, s1
	s_mul_hi_u32 s28, s0, s27
	s_mul_hi_u32 s21, s0, s1
	s_add_u32 s26, s28, s26
	s_addc_u32 s21, 0, s21
	s_mul_hi_u32 s29, s20, s27
	s_mul_i32 s27, s20, s27
	s_add_u32 s26, s26, s27
	s_mul_hi_u32 s28, s20, s1
	s_addc_u32 s21, s21, s29
	s_addc_u32 s26, s28, 0
	s_mul_i32 s1, s20, s1
	s_add_u32 s1, s21, s1
	s_addc_u32 s21, 0, s26
	s_add_u32 s26, s0, s1
	s_cselect_b64 s[0:1], -1, 0
	s_cmp_lg_u64 s[0:1], 0
	s_addc_u32 s20, s20, s21
	s_mul_i32 s0, s9, s20
	s_mul_hi_u32 s1, s9, s26
	s_add_i32 s0, s1, s0
	s_mul_i32 s19, s19, s26
	s_add_i32 s0, s0, s19
	s_mul_i32 s9, s9, s26
	s_mul_hi_u32 s19, s20, s9
	s_mul_i32 s21, s20, s9
	s_mul_i32 s28, s26, s0
	s_mul_hi_u32 s9, s26, s9
	s_mul_hi_u32 s27, s26, s0
	s_add_u32 s9, s9, s28
	s_addc_u32 s27, 0, s27
	s_add_u32 s9, s9, s21
	s_mul_hi_u32 s1, s20, s0
	s_addc_u32 s9, s27, s19
	s_addc_u32 s1, s1, 0
	s_mul_i32 s0, s20, s0
	s_add_u32 s0, s9, s0
	s_addc_u32 s9, 0, s1
	s_add_u32 s19, s26, s0
	s_cselect_b64 s[0:1], -1, 0
	s_cmp_lg_u64 s[0:1], 0
	v_add_co_u32_e32 v6, vcc, v11, v10
	s_addc_u32 s9, s20, s9
	v_xor_b32_e32 v13, v6, v10
	v_mad_u64_u32 v[6:7], s[0:1], v13, s9, 0
	v_mul_hi_u32 v9, v13, s19
	v_addc_co_u32_e32 v8, vcc, v12, v10, vcc
	v_xor_b32_e32 v14, v8, v10
	v_add_co_u32_e32 v15, vcc, v9, v6
	v_addc_co_u32_e32 v16, vcc, 0, v7, vcc
	v_mad_u64_u32 v[6:7], s[0:1], v14, s19, 0
	v_mad_u64_u32 v[8:9], s[0:1], v14, s9, 0
	v_add_co_u32_e32 v6, vcc, v15, v6
	v_addc_co_u32_e32 v6, vcc, v16, v7, vcc
	v_addc_co_u32_e32 v7, vcc, 0, v9, vcc
	v_add_co_u32_e32 v8, vcc, v6, v8
	v_addc_co_u32_e32 v9, vcc, 0, v7, vcc
	v_mul_lo_u32 v15, s11, v8
	v_mul_lo_u32 v16, s10, v9
	v_mad_u64_u32 v[6:7], s[0:1], s10, v8, 0
	v_add3_u32 v7, v7, v16, v15
	v_sub_u32_e32 v15, v14, v7
	v_mov_b32_e32 v16, s11
	v_sub_co_u32_e32 v6, vcc, v13, v6
	v_subb_co_u32_e64 v13, s[0:1], v15, v16, vcc
	v_subrev_co_u32_e64 v15, s[0:1], s10, v6
	v_subbrev_co_u32_e64 v13, s[0:1], 0, v13, s[0:1]
	v_cmp_le_u32_e64 s[0:1], s11, v13
	v_cndmask_b32_e64 v16, 0, -1, s[0:1]
	v_cmp_le_u32_e64 s[0:1], s10, v15
	v_cndmask_b32_e64 v15, 0, -1, s[0:1]
	v_cmp_eq_u32_e64 s[0:1], s11, v13
	v_cndmask_b32_e64 v13, v16, v15, s[0:1]
	v_add_co_u32_e64 v15, s[0:1], 2, v8
	v_subb_co_u32_e32 v7, vcc, v14, v7, vcc
	v_addc_co_u32_e64 v16, s[0:1], 0, v9, s[0:1]
	v_cmp_le_u32_e32 vcc, s11, v7
	v_add_co_u32_e64 v17, s[0:1], 1, v8
	v_cndmask_b32_e64 v14, 0, -1, vcc
	v_cmp_le_u32_e32 vcc, s10, v6
	v_addc_co_u32_e64 v18, s[0:1], 0, v9, s[0:1]
	v_cndmask_b32_e64 v6, 0, -1, vcc
	v_cmp_eq_u32_e32 vcc, s11, v7
	v_cmp_ne_u32_e64 s[0:1], 0, v13
	v_cndmask_b32_e32 v6, v14, v6, vcc
	v_cndmask_b32_e64 v13, v18, v16, s[0:1]
	v_cmp_ne_u32_e32 vcc, 0, v6
	v_cndmask_b32_e64 v7, v17, v15, s[0:1]
	v_cndmask_b32_e32 v6, v9, v13, vcc
	v_cndmask_b32_e32 v7, v8, v7, vcc
	v_xor_b32_e32 v8, s8, v10
	v_xor_b32_e32 v9, v6, v8
	;; [unrolled: 1-line block ×3, first 2 shown]
	v_sub_co_u32_e32 v6, vcc, v6, v8
	v_subb_co_u32_e32 v7, vcc, v9, v8, vcc
.LBB37_8:
	s_or_saveexec_b64 s[0:1], s[6:7]
	s_load_dword s2, s[2:3], 0x0
	s_xor_b64 exec, exec, s[0:1]
	s_cbranch_execz .LBB37_10
; %bb.9:
	v_cvt_f32_u32_e32 v6, s14
	s_sub_i32 s3, 0, s14
	v_rcp_iflag_f32_e32 v6, v6
	v_mul_f32_e32 v6, 0x4f7ffffe, v6
	v_cvt_u32_f32_e32 v6, v6
	v_mul_lo_u32 v7, s3, v6
	v_mul_hi_u32 v7, v6, v7
	v_add_u32_e32 v6, v6, v7
	v_mul_hi_u32 v6, v11, v6
	v_mul_lo_u32 v7, v6, s14
	v_add_u32_e32 v8, 1, v6
	v_sub_u32_e32 v7, v11, v7
	v_subrev_u32_e32 v9, s14, v7
	v_cmp_le_u32_e32 vcc, s14, v7
	v_cndmask_b32_e32 v7, v7, v9, vcc
	v_cndmask_b32_e32 v6, v6, v8, vcc
	v_add_u32_e32 v8, 1, v6
	v_cmp_le_u32_e32 vcc, s14, v7
	v_cndmask_b32_e32 v6, v6, v8, vcc
	v_mov_b32_e32 v7, 0
.LBB37_10:
	s_or_b64 exec, exec, s[0:1]
	s_load_dwordx8 s[36:43], s[4:5], 0x0
	s_load_dwordx2 s[0:1], s[4:5], 0x20
	s_load_dword s3, s[4:5], 0x28
	v_lshlrev_b64 v[8:9], 2, v[2:3]
	v_ashrrev_i32_e32 v2, 31, v4
	v_mul_lo_u32 v10, v4, s23
	s_waitcnt lgkmcnt(0)
	v_mov_b32_e32 v14, s1
	v_add_co_u32_e32 v13, vcc, s0, v8
	v_addc_co_u32_e32 v14, vcc, v14, v9, vcc
	global_load_dword v18, v[13:14], off
	v_mul_lo_u32 v17, v2, s22
	v_mad_u64_u32 v[13:14], s[0:1], v4, s22, 0
	v_mov_b32_e32 v3, s39
	v_add_co_u32_e32 v15, vcc, s38, v8
	v_add3_u32 v14, v14, v10, v17
	v_addc_co_u32_e32 v16, vcc, v3, v9, vcc
	v_lshlrev_b64 v[8:9], 2, v[13:14]
	v_mul_lo_u32 v10, v7, s16
	v_mul_lo_u32 v17, v6, s17
	v_mad_u64_u32 v[13:14], s[0:1], v6, s16, 0
	v_mov_b32_e32 v3, s41
	v_add_co_u32_e32 v19, vcc, s40, v8
	v_add3_u32 v14, v14, v17, v10
	v_addc_co_u32_e32 v3, vcc, v3, v9, vcc
	v_lshlrev_b64 v[8:9], 2, v[13:14]
	v_mul_lo_u32 v17, v7, s14
	v_mul_lo_u32 v20, v6, s15
	v_mad_u64_u32 v[13:14], s[0:1], v6, s14, 0
	v_add_co_u32_e32 v8, vcc, v19, v8
	v_addc_co_u32_e32 v9, vcc, v3, v9, vcc
	v_add3_u32 v3, v14, v20, v17
	v_sub_co_u32_e32 v13, vcc, v11, v13
	global_load_dword v10, v[15:16], off
	v_subb_co_u32_e32 v16, vcc, v12, v3, vcc
	v_mul_lo_u32 v15, s16, v5
	v_mul_lo_u32 v3, v13, s13
	;; [unrolled: 1-line block ×3, first 2 shown]
	v_mad_u64_u32 v[5:6], s[0:1], v13, s12, v[6:7]
	v_mov_b32_e32 v14, 0
	v_ashrrev_i64 v[11:12], 30, v[14:15]
	v_add3_u32 v3, v17, v6, v3
	v_mul_lo_u32 v3, v3, s16
	v_mul_lo_u32 v14, v5, s17
	v_mad_u64_u32 v[5:6], s[0:1], v5, s16, 0
	v_mov_b32_e32 v7, s37
	v_add_co_u32_e32 v11, vcc, s36, v11
	v_add3_u32 v6, v6, v14, v3
	v_addc_co_u32_e32 v12, vcc, v7, v12, vcc
	v_lshlrev_b64 v[6:7], 2, v[5:6]
	v_mul_lo_u32 v5, v4, s25
	v_mul_lo_u32 v14, v2, s24
	v_mad_u64_u32 v[2:3], s[0:1], v4, s24, 0
	v_add_co_u32_e32 v6, vcc, v11, v6
	v_addc_co_u32_e32 v7, vcc, v12, v7, vcc
	v_add3_u32 v3, v3, v5, v14
	v_mul_lo_u32 v12, v16, s16
	v_mul_lo_u32 v14, v13, s17
	v_mad_u64_u32 v[4:5], s[0:1], v13, s16, 0
	v_lshlrev_b64 v[2:3], 2, v[2:3]
	v_mov_b32_e32 v11, s43
	v_add_co_u32_e32 v13, vcc, s42, v2
	v_add3_u32 v5, v5, v14, v12
	v_addc_co_u32_e32 v15, vcc, v11, v3, vcc
	v_lshlrev_b64 v[2:3], 2, v[4:5]
	s_mov_b32 s14, 0x3f2aaaab
	v_add_co_u32_e32 v11, vcc, v13, v2
	v_addc_co_u32_e32 v12, vcc, v15, v3, vcc
	v_add_f32_e64 v13, s3, -1.0
	s_waitcnt vmcnt(1)
	v_cmp_neq_f32_e32 vcc, 1.0, v18
	v_cndmask_b32_e32 v19, 1.0, v13, vcc
	v_cmp_neq_f32_e32 vcc, 0, v19
	v_cndmask_b32_e32 v20, 1.0, v18, vcc
	v_frexp_mant_f32_e64 v2, |v20|
	v_cmp_gt_f32_e32 vcc, s14, v2
	v_cndmask_b32_e64 v3, 1.0, 2.0, vcc
	v_mul_f32_e32 v2, v2, v3
	v_add_f32_e32 v3, 1.0, v2
	v_rcp_f32_e32 v4, v3
	v_add_f32_e32 v5, -1.0, v2
	v_add_f32_e32 v14, -1.0, v3
	v_sub_f32_e32 v2, v2, v14
	v_mul_f32_e32 v14, v5, v4
	v_mul_f32_e32 v15, v3, v14
	v_fma_f32 v3, v14, v3, -v15
	v_fmac_f32_e32 v3, v14, v2
	v_add_f32_e32 v2, v15, v3
	v_sub_f32_e32 v16, v5, v2
	v_sub_f32_e32 v15, v2, v15
	;; [unrolled: 1-line block ×5, first 2 shown]
	v_add_f32_e32 v2, v3, v2
	v_add_f32_e32 v2, v16, v2
	v_mul_f32_e32 v2, v4, v2
	v_add_f32_e32 v4, v14, v2
	v_sub_f32_e32 v3, v4, v14
	v_sub_f32_e32 v5, v2, v3
	v_mul_f32_e32 v2, v4, v4
	v_fma_f32 v3, v4, v4, -v2
	v_add_f32_e32 v14, v5, v5
	v_fmac_f32_e32 v3, v4, v14
	v_add_f32_e32 v15, v2, v3
	v_mov_b32_e32 v16, 0x3e91f4c4
	v_fmac_f32_e32 v16, 0x3e76c4e1, v15
	v_mov_b32_e32 v14, 0x3ecccdef
	v_fma_f32 v16, v15, v16, v14
	v_sub_f32_e32 v2, v15, v2
	v_mul_f32_e32 v17, v4, v15
	v_sub_f32_e32 v2, v3, v2
	v_fma_f32 v21, v15, v4, -v17
	v_mul_f32_e32 v3, v15, v16
	v_fmac_f32_e32 v21, v15, v5
	v_fma_f32 v15, v15, v16, -v3
	v_fmac_f32_e32 v15, v2, v16
	v_fmac_f32_e32 v21, v2, v4
	v_add_f32_e32 v2, v3, v15
	v_sub_f32_e32 v3, v2, v3
	v_sub_f32_e32 v3, v15, v3
	v_add_f32_e32 v15, 0x3f2aaaaa, v2
	v_add_f32_e32 v16, 0xbf2aaaaa, v15
	v_sub_f32_e32 v2, v2, v16
	v_add_f32_e32 v3, 0x31739010, v3
	v_add_f32_e32 v2, v3, v2
	;; [unrolled: 1-line block ×3, first 2 shown]
	v_sub_f32_e32 v3, v15, v16
	v_add_f32_e32 v15, v2, v3
	v_cvt_f64_f32_e64 v[2:3], |v20|
	v_add_f32_e32 v22, v17, v21
	v_mul_f32_e32 v23, v22, v16
	v_fma_f32 v24, v22, v16, -v23
	v_frexp_exp_i32_f64_e32 v2, v[2:3]
	v_fmac_f32_e32 v24, v22, v15
	v_sub_f32_e32 v3, v22, v17
	v_sub_f32_e32 v3, v21, v3
	v_fmac_f32_e32 v24, v3, v16
	s_mov_b32 s15, 0x3f317218
	v_ldexp_f32 v4, v4, 1
	v_ldexp_f32 v5, v5, 1
	v_subbrev_co_u32_e32 v2, vcc, 0, v2, vcc
	v_cvt_f32_i32_e32 v15, v2
	s_lshl_b64 s[0:1], s[16:17], 2
	v_mov_b32_e32 v3, s1
	v_add_co_u32_e32 v2, vcc, s0, v8
	v_mul_f32_e32 v16, 0x3f317218, v15
	v_fma_f32 v17, v15, s15, -v16
	v_fmac_f32_e32 v17, 0xb102e308, v15
	v_add_f32_e32 v15, v16, v17
	v_sub_f32_e32 v16, v15, v16
	v_sub_f32_e32 v16, v17, v16
	v_add_f32_e32 v17, v23, v24
	v_sub_f32_e32 v21, v17, v23
	v_add_f32_e32 v22, v4, v17
	v_sub_f32_e32 v21, v24, v21
	v_sub_f32_e32 v4, v22, v4
	;; [unrolled: 1-line block ×3, first 2 shown]
	v_add_f32_e32 v5, v5, v21
	v_add_f32_e32 v4, v5, v4
	;; [unrolled: 1-line block ×3, first 2 shown]
	v_sub_f32_e32 v17, v5, v22
	v_sub_f32_e32 v4, v4, v17
	v_add_f32_e32 v17, v15, v5
	v_sub_f32_e32 v21, v17, v15
	v_sub_f32_e32 v22, v17, v21
	;; [unrolled: 1-line block ×4, first 2 shown]
	v_add_f32_e32 v5, v5, v15
	v_add_f32_e32 v15, v16, v4
	v_sub_f32_e32 v21, v15, v16
	v_sub_f32_e32 v22, v15, v21
	v_add_f32_e32 v5, v15, v5
	v_sub_f32_e32 v16, v16, v22
	v_sub_f32_e32 v4, v4, v21
	v_add_f32_e32 v15, v17, v5
	v_add_f32_e32 v4, v4, v16
	v_sub_f32_e32 v16, v15, v17
	v_sub_f32_e32 v5, v5, v16
	v_add_f32_e32 v4, v4, v5
	v_add_f32_e32 v5, v15, v4
	v_sub_f32_e32 v15, v5, v15
	v_sub_f32_e32 v4, v4, v15
	v_mul_f32_e32 v15, v19, v5
	v_fma_f32 v5, v19, v5, -v15
	v_addc_co_u32_e32 v3, vcc, v9, v3, vcc
	v_fmac_f32_e32 v5, v19, v4
	s_movk_i32 s16, 0x204
	v_add_f32_e32 v4, v15, v5
	v_cmp_class_f32_e64 vcc, v15, s16
	v_sub_f32_e32 v16, v4, v15
	v_cndmask_b32_e32 v4, v4, v15, vcc
	s_mov_b32 s17, 0x7f800000
	v_sub_f32_e32 v5, v5, v16
	v_cmp_neq_f32_e64 vcc, |v4|, s17
	s_mov_b32 s19, 0x42b17218
	v_cndmask_b32_e32 v5, 0, v5, vcc
	v_mov_b32_e32 v15, 0x37000000
	v_cmp_eq_f32_e32 vcc, s19, v4
	v_cndmask_b32_e32 v17, 0, v15, vcc
	v_sub_f32_e32 v4, v4, v17
	s_mov_b32 s20, 0x3fb8aa3b
	v_mul_f32_e32 v21, 0x3fb8aa3b, v4
	v_fma_f32 v22, v4, s20, -v21
	v_rndne_f32_e32 v23, v21
	v_fmac_f32_e32 v22, 0x32a5705f, v4
	v_sub_f32_e32 v21, v21, v23
	v_add_f32_e32 v21, v21, v22
	v_exp_f32_e32 v21, v21
	v_cvt_i32_f32_e32 v22, v23
	v_mul_f32_e32 v16, 0.5, v19
	v_trunc_f32_e32 v23, v16
	s_mov_b32 s21, 0xc2ce8ed0
	v_cmp_neq_f32_e32 vcc, v23, v16
	v_ldexp_f32 v16, v21, v22
	v_cmp_ngt_f32_e64 s[0:1], s21, v4
	v_add_f32_e32 v5, v17, v5
	v_cndmask_b32_e64 v17, 0, v16, s[0:1]
	v_mov_b32_e32 v16, 0x7f800000
	v_cmp_nlt_f32_e64 s[0:1], s19, v4
	v_cndmask_b32_e64 v4, v16, v17, s[0:1]
	v_fma_f32 v5, v4, v5, v4
	v_cmp_class_f32_e64 s[0:1], v4, s16
	v_cndmask_b32_e64 v4, v5, v4, s[0:1]
	v_trunc_f32_e32 v5, v19
	v_cmp_eq_f32_e64 s[0:1], v5, v19
	s_and_b64 vcc, s[0:1], vcc
	s_brev_b32 s6, -2
	v_cndmask_b32_e32 v5, 1.0, v20, vcc
	v_mov_b32_e32 v17, 0x7fc00000
	v_bfi_b32 v4, s6, v4, v5
	v_cndmask_b32_e64 v5, v17, v4, s[0:1]
	v_cmp_gt_f32_e64 s[0:1], 0, v20
	v_cndmask_b32_e64 v4, v4, v5, s[0:1]
	v_cmp_neq_f32_e64 s[0:1], v19, |v19|
	v_cmp_lt_f32_e64 s[4:5], |v20|, 1.0
	s_xor_b64 s[0:1], s[0:1], s[4:5]
	v_cndmask_b32_e64 v5, v16, 0, s[0:1]
	v_cmp_neq_f32_e64 s[0:1], |v20|, 1.0
	v_cndmask_b32_e64 v5, 1.0, v5, s[0:1]
	v_cmp_class_f32_e64 s[0:1], v19, s16
	v_cndmask_b32_e64 v4, v4, v5, s[0:1]
	v_cmp_gt_f32_e64 s[0:1], 0, v19
	v_cndmask_b32_e64 v5, v16, 0, s[0:1]
	v_cndmask_b32_e32 v21, 0, v20, vcc
	v_lshlrev_b64 v[0:1], 2, v[0:1]
	v_bfi_b32 v5, s6, v5, v21
	v_cmp_class_f32_e64 vcc, v20, s16
	v_cndmask_b32_e32 v21, v4, v5, vcc
	v_add_co_u32_e32 v4, vcc, v8, v0
	v_addc_co_u32_e32 v5, vcc, v9, v1, vcc
	s_mul_i32 s2, s2, s18
	v_cmp_lt_f32_e64 s[6:7], s3, 1.0
	v_cmp_o_f32_e32 vcc, v20, v19
	s_ashr_i32 s3, s2, 31
	v_cmp_eq_f32_e64 s[0:1], 0, v18
	v_cndmask_b32_e32 v18, v17, v21, vcc
	s_lshl_b64 s[8:9], s[2:3], 2
	s_mov_b64 s[10:11], 0
	s_branch .LBB37_12
.LBB37_11:                              ;   in Loop: Header=BB37_12 Depth=1
	s_or_b64 exec, exec, s[12:13]
	v_add_co_u32_e32 v20, vcc, v6, v0
	v_addc_co_u32_e32 v21, vcc, v7, v1, vcc
	v_mov_b32_e32 v22, s9
	v_add_co_u32_e32 v4, vcc, s8, v4
	v_addc_co_u32_e32 v5, vcc, v5, v22, vcc
	v_cmp_ge_u64_e32 vcc, v[4:5], v[2:3]
	global_store_dword v[20:21], v19, off
	s_or_b64 s[10:11], vcc, s[10:11]
	v_add_co_u32_e32 v0, vcc, s8, v0
	v_addc_co_u32_e32 v1, vcc, v1, v22, vcc
	s_andn2_b64 exec, exec, s[10:11]
	s_cbranch_execz .LBB37_14
.LBB37_12:                              ; =>This Inner Loop Header: Depth=1
	v_add_co_u32_e32 v19, vcc, v11, v0
	v_addc_co_u32_e32 v20, vcc, v12, v1, vcc
	v_add_co_u32_e32 v21, vcc, v8, v0
	v_addc_co_u32_e32 v22, vcc, v9, v1, vcc
	global_load_dword v23, v[21:22], off
	global_load_dword v24, v[19:20], off
	v_mov_b32_e32 v19, 0
	s_waitcnt vmcnt(0)
	v_sub_f32_e32 v21, v23, v24
	v_cmp_eq_f32_e32 vcc, 0, v21
	s_and_b64 s[2:3], s[6:7], vcc
	s_nor_b64 s[2:3], s[0:1], s[2:3]
	s_and_saveexec_b64 s[12:13], s[2:3]
	s_cbranch_execz .LBB37_11
; %bb.13:                               ;   in Loop: Header=BB37_12 Depth=1
	v_cmp_neq_f32_e64 vcc, |v21|, 1.0
	v_cndmask_b32_e32 v19, 1.0, v13, vcc
	v_cmp_neq_f32_e32 vcc, 0, v19
	v_cndmask_b32_e64 v20, 1.0, |v21|, vcc
	v_frexp_mant_f32_e32 v22, v20
	v_cmp_gt_f32_e32 vcc, s14, v22
	v_cndmask_b32_e64 v23, 1.0, 2.0, vcc
	v_mul_f32_e32 v22, v22, v23
	v_add_f32_e32 v23, 1.0, v22
	v_rcp_f32_e32 v24, v23
	v_add_f32_e32 v25, -1.0, v22
	v_add_f32_e32 v26, -1.0, v23
	v_sub_f32_e32 v22, v22, v26
	v_mul_f32_e32 v26, v25, v24
	v_mul_f32_e32 v27, v23, v26
	v_fma_f32 v23, v26, v23, -v27
	v_fmac_f32_e32 v23, v26, v22
	v_add_f32_e32 v22, v27, v23
	v_sub_f32_e32 v28, v25, v22
	v_sub_f32_e32 v27, v22, v27
	;; [unrolled: 1-line block ×5, first 2 shown]
	v_add_f32_e32 v22, v23, v22
	v_add_f32_e32 v22, v28, v22
	v_mul_f32_e32 v22, v24, v22
	v_add_f32_e32 v24, v26, v22
	v_sub_f32_e32 v23, v24, v26
	v_sub_f32_e32 v25, v22, v23
	v_mul_f32_e32 v22, v24, v24
	v_fma_f32 v23, v24, v24, -v22
	v_add_f32_e32 v26, v25, v25
	v_fmac_f32_e32 v23, v24, v26
	v_add_f32_e32 v26, v22, v23
	v_mov_b32_e32 v27, 0x3e91f4c4
	v_fmac_f32_e32 v27, 0x3e76c4e1, v26
	v_fma_f32 v27, v26, v27, v14
	v_sub_f32_e32 v22, v26, v22
	v_mul_f32_e32 v28, v24, v26
	v_sub_f32_e32 v22, v23, v22
	v_fma_f32 v29, v26, v24, -v28
	v_mul_f32_e32 v23, v26, v27
	v_fmac_f32_e32 v29, v26, v25
	v_fma_f32 v26, v26, v27, -v23
	v_fmac_f32_e32 v26, v22, v27
	v_fmac_f32_e32 v29, v22, v24
	v_add_f32_e32 v22, v23, v26
	v_add_f32_e32 v27, 0x3f2aaaaa, v22
	v_sub_f32_e32 v23, v22, v23
	v_sub_f32_e32 v23, v26, v23
	v_add_f32_e32 v26, 0xbf2aaaaa, v27
	v_add_f32_e32 v23, 0x31739010, v23
	v_sub_f32_e32 v22, v22, v26
	v_add_f32_e32 v26, v23, v22
	v_cvt_f64_f32_e32 v[22:23], v20
	v_add_f32_e32 v30, v27, v26
	v_sub_f32_e32 v27, v27, v30
	v_add_f32_e32 v26, v26, v27
	v_frexp_exp_i32_f64_e32 v22, v[22:23]
	v_add_f32_e32 v23, v28, v29
	v_mul_f32_e32 v27, v23, v30
	v_fma_f32 v31, v23, v30, -v27
	v_fmac_f32_e32 v31, v23, v26
	v_sub_f32_e32 v23, v23, v28
	v_sub_f32_e32 v23, v29, v23
	v_cmp_lt_f32_e64 s[2:3], 0, v21
	v_subbrev_co_u32_e32 v22, vcc, 0, v22, vcc
	v_cvt_f32_i32_e32 v22, v22
	v_cndmask_b32_e64 v26, 0, 1, s[2:3]
	v_cmp_gt_f32_e32 vcc, 0, v21
	v_fmac_f32_e32 v31, v23, v30
	v_mul_f32_e32 v23, 0x3f317218, v22
	v_subbrev_co_u32_e32 v21, vcc, 0, v26, vcc
	v_fma_f32 v26, v22, s15, -v23
	v_fmac_f32_e32 v26, 0xb102e308, v22
	v_ldexp_f32 v22, v25, 1
	v_add_f32_e32 v25, v23, v26
	v_sub_f32_e32 v23, v25, v23
	v_ldexp_f32 v24, v24, 1
	v_sub_f32_e32 v23, v26, v23
	v_add_f32_e32 v26, v27, v31
	v_sub_f32_e32 v27, v26, v27
	v_add_f32_e32 v28, v24, v26
	v_sub_f32_e32 v27, v31, v27
	v_sub_f32_e32 v24, v28, v24
	;; [unrolled: 1-line block ×3, first 2 shown]
	v_add_f32_e32 v22, v22, v27
	v_add_f32_e32 v22, v22, v24
	;; [unrolled: 1-line block ×3, first 2 shown]
	v_sub_f32_e32 v26, v24, v28
	v_sub_f32_e32 v22, v22, v26
	v_add_f32_e32 v26, v25, v24
	v_sub_f32_e32 v27, v26, v25
	v_sub_f32_e32 v28, v26, v27
	;; [unrolled: 1-line block ×4, first 2 shown]
	v_add_f32_e32 v24, v24, v25
	v_add_f32_e32 v25, v23, v22
	v_sub_f32_e32 v27, v25, v23
	v_sub_f32_e32 v28, v25, v27
	;; [unrolled: 1-line block ×4, first 2 shown]
	v_add_f32_e32 v22, v22, v23
	v_add_f32_e32 v23, v25, v24
	;; [unrolled: 1-line block ×3, first 2 shown]
	v_sub_f32_e32 v25, v24, v26
	v_sub_f32_e32 v23, v23, v25
	v_add_f32_e32 v22, v22, v23
	v_add_f32_e32 v23, v24, v22
	v_sub_f32_e32 v24, v23, v24
	v_sub_f32_e32 v22, v22, v24
	v_mul_f32_e32 v24, v19, v23
	v_fma_f32 v23, v19, v23, -v24
	v_fmac_f32_e32 v23, v19, v22
	v_add_f32_e32 v22, v24, v23
	v_cmp_class_f32_e64 vcc, v24, s16
	v_sub_f32_e32 v25, v22, v24
	v_cndmask_b32_e32 v22, v22, v24, vcc
	v_cmp_eq_f32_e32 vcc, s19, v22
	v_cndmask_b32_e32 v24, 0, v15, vcc
	v_sub_f32_e32 v23, v23, v25
	v_sub_f32_e32 v25, v22, v24
	v_mul_f32_e32 v26, 0x3fb8aa3b, v25
	v_fma_f32 v27, v25, s20, -v26
	v_rndne_f32_e32 v28, v26
	v_fmac_f32_e32 v27, 0x32a5705f, v25
	v_sub_f32_e32 v26, v26, v28
	v_add_f32_e32 v26, v26, v27
	v_exp_f32_e32 v26, v26
	v_cvt_i32_f32_e32 v27, v28
	v_cmp_neq_f32_e64 vcc, |v22|, s17
	v_cndmask_b32_e32 v22, 0, v23, vcc
	v_cmp_ngt_f32_e32 vcc, s21, v25
	v_ldexp_f32 v23, v26, v27
	v_cndmask_b32_e32 v23, 0, v23, vcc
	v_cmp_nlt_f32_e32 vcc, s19, v25
	v_add_f32_e32 v22, v24, v22
	v_cndmask_b32_e32 v23, v16, v23, vcc
	v_fma_f32 v22, v23, v22, v23
	v_cmp_class_f32_e64 vcc, v23, s16
	v_cndmask_b32_e32 v22, v22, v23, vcc
	v_cmp_neq_f32_e64 s[2:3], v19, |v19|
	v_cmp_gt_f32_e32 vcc, 1.0, v20
	s_xor_b64 s[2:3], s[2:3], vcc
	v_cndmask_b32_e64 v23, v16, 0, s[2:3]
	v_cmp_neq_f32_e32 vcc, 1.0, v20
	v_cndmask_b32_e32 v23, 1.0, v23, vcc
	v_cmp_class_f32_e64 s[2:3], v19, s16
	v_cndmask_b32_e64 v22, |v22|, v23, s[2:3]
	v_cmp_eq_f32_e64 s[2:3], 0, v20
	v_cmp_gt_f32_e64 s[4:5], 0, v19
	v_cvt_f32_i32_e32 v21, v21
	v_cmp_eq_f32_e32 vcc, s17, v20
	s_xor_b64 s[4:5], s[4:5], s[2:3]
	v_cndmask_b32_e64 v23, v16, 0, s[4:5]
	s_or_b64 vcc, s[2:3], vcc
	v_cndmask_b32_e32 v22, v22, v23, vcc
	v_cmp_o_f32_e32 vcc, v20, v19
	v_cndmask_b32_e32 v19, v17, v22, vcc
	v_mul_f32_e32 v19, v19, v21
	v_mul_f32_e32 v19, v10, v19
	v_div_scale_f32 v20, s[2:3], v18, v18, v19
	v_div_scale_f32 v21, vcc, v19, v18, v19
	v_rcp_f32_e32 v22, v20
	v_fma_f32 v23, -v20, v22, 1.0
	v_fmac_f32_e32 v22, v23, v22
	v_mul_f32_e32 v23, v21, v22
	v_fma_f32 v24, -v20, v23, v21
	v_fmac_f32_e32 v23, v24, v22
	v_fma_f32 v20, -v20, v23, v21
	v_div_fmas_f32 v20, v20, v22, v23
	v_div_fixup_f32 v19, v20, v18, v19
	s_branch .LBB37_11
.LBB37_14:
	s_endpgm
	.section	.rodata,"a",@progbits
	.p2align	6, 0x0
	.amdhsa_kernel _ZN2at6native12_GLOBAL__N_131cdist_backward_kernel_cuda_implIfNS1_5distsIfE6lt_twoEEEvPT_PKS6_S9_S9_S9_S6_lllllll
		.amdhsa_group_segment_fixed_size 0
		.amdhsa_private_segment_fixed_size 0
		.amdhsa_kernarg_size 360
		.amdhsa_user_sgpr_count 6
		.amdhsa_user_sgpr_private_segment_buffer 1
		.amdhsa_user_sgpr_dispatch_ptr 0
		.amdhsa_user_sgpr_queue_ptr 0
		.amdhsa_user_sgpr_kernarg_segment_ptr 1
		.amdhsa_user_sgpr_dispatch_id 0
		.amdhsa_user_sgpr_flat_scratch_init 0
		.amdhsa_user_sgpr_private_segment_size 0
		.amdhsa_uses_dynamic_stack 0
		.amdhsa_system_sgpr_private_segment_wavefront_offset 0
		.amdhsa_system_sgpr_workgroup_id_x 1
		.amdhsa_system_sgpr_workgroup_id_y 1
		.amdhsa_system_sgpr_workgroup_id_z 1
		.amdhsa_system_sgpr_workgroup_info 0
		.amdhsa_system_vgpr_workitem_id 1
		.amdhsa_next_free_vgpr 32
		.amdhsa_next_free_sgpr 44
		.amdhsa_reserve_vcc 1
		.amdhsa_reserve_flat_scratch 0
		.amdhsa_float_round_mode_32 0
		.amdhsa_float_round_mode_16_64 0
		.amdhsa_float_denorm_mode_32 3
		.amdhsa_float_denorm_mode_16_64 3
		.amdhsa_dx10_clamp 1
		.amdhsa_ieee_mode 1
		.amdhsa_fp16_overflow 0
		.amdhsa_exception_fp_ieee_invalid_op 0
		.amdhsa_exception_fp_denorm_src 0
		.amdhsa_exception_fp_ieee_div_zero 0
		.amdhsa_exception_fp_ieee_overflow 0
		.amdhsa_exception_fp_ieee_underflow 0
		.amdhsa_exception_fp_ieee_inexact 0
		.amdhsa_exception_int_div_zero 0
	.end_amdhsa_kernel
	.section	.text._ZN2at6native12_GLOBAL__N_131cdist_backward_kernel_cuda_implIfNS1_5distsIfE6lt_twoEEEvPT_PKS6_S9_S9_S9_S6_lllllll,"axG",@progbits,_ZN2at6native12_GLOBAL__N_131cdist_backward_kernel_cuda_implIfNS1_5distsIfE6lt_twoEEEvPT_PKS6_S9_S9_S9_S6_lllllll,comdat
.Lfunc_end37:
	.size	_ZN2at6native12_GLOBAL__N_131cdist_backward_kernel_cuda_implIfNS1_5distsIfE6lt_twoEEEvPT_PKS6_S9_S9_S9_S6_lllllll, .Lfunc_end37-_ZN2at6native12_GLOBAL__N_131cdist_backward_kernel_cuda_implIfNS1_5distsIfE6lt_twoEEEvPT_PKS6_S9_S9_S9_S6_lllllll
                                        ; -- End function
	.set _ZN2at6native12_GLOBAL__N_131cdist_backward_kernel_cuda_implIfNS1_5distsIfE6lt_twoEEEvPT_PKS6_S9_S9_S9_S6_lllllll.num_vgpr, 32
	.set _ZN2at6native12_GLOBAL__N_131cdist_backward_kernel_cuda_implIfNS1_5distsIfE6lt_twoEEEvPT_PKS6_S9_S9_S9_S6_lllllll.num_agpr, 0
	.set _ZN2at6native12_GLOBAL__N_131cdist_backward_kernel_cuda_implIfNS1_5distsIfE6lt_twoEEEvPT_PKS6_S9_S9_S9_S6_lllllll.numbered_sgpr, 44
	.set _ZN2at6native12_GLOBAL__N_131cdist_backward_kernel_cuda_implIfNS1_5distsIfE6lt_twoEEEvPT_PKS6_S9_S9_S9_S6_lllllll.num_named_barrier, 0
	.set _ZN2at6native12_GLOBAL__N_131cdist_backward_kernel_cuda_implIfNS1_5distsIfE6lt_twoEEEvPT_PKS6_S9_S9_S9_S6_lllllll.private_seg_size, 0
	.set _ZN2at6native12_GLOBAL__N_131cdist_backward_kernel_cuda_implIfNS1_5distsIfE6lt_twoEEEvPT_PKS6_S9_S9_S9_S6_lllllll.uses_vcc, 1
	.set _ZN2at6native12_GLOBAL__N_131cdist_backward_kernel_cuda_implIfNS1_5distsIfE6lt_twoEEEvPT_PKS6_S9_S9_S9_S6_lllllll.uses_flat_scratch, 0
	.set _ZN2at6native12_GLOBAL__N_131cdist_backward_kernel_cuda_implIfNS1_5distsIfE6lt_twoEEEvPT_PKS6_S9_S9_S9_S6_lllllll.has_dyn_sized_stack, 0
	.set _ZN2at6native12_GLOBAL__N_131cdist_backward_kernel_cuda_implIfNS1_5distsIfE6lt_twoEEEvPT_PKS6_S9_S9_S9_S6_lllllll.has_recursion, 0
	.set _ZN2at6native12_GLOBAL__N_131cdist_backward_kernel_cuda_implIfNS1_5distsIfE6lt_twoEEEvPT_PKS6_S9_S9_S9_S6_lllllll.has_indirect_call, 0
	.section	.AMDGPU.csdata,"",@progbits
; Kernel info:
; codeLenInByte = 4104
; TotalNumSgprs: 48
; NumVgprs: 32
; ScratchSize: 0
; MemoryBound: 0
; FloatMode: 240
; IeeeMode: 1
; LDSByteSize: 0 bytes/workgroup (compile time only)
; SGPRBlocks: 5
; VGPRBlocks: 7
; NumSGPRsForWavesPerEU: 48
; NumVGPRsForWavesPerEU: 32
; Occupancy: 8
; WaveLimiterHint : 0
; COMPUTE_PGM_RSRC2:SCRATCH_EN: 0
; COMPUTE_PGM_RSRC2:USER_SGPR: 6
; COMPUTE_PGM_RSRC2:TRAP_HANDLER: 0
; COMPUTE_PGM_RSRC2:TGID_X_EN: 1
; COMPUTE_PGM_RSRC2:TGID_Y_EN: 1
; COMPUTE_PGM_RSRC2:TGID_Z_EN: 1
; COMPUTE_PGM_RSRC2:TIDIG_COMP_CNT: 1
	.section	.text._ZN2at6native12_GLOBAL__N_131cdist_backward_kernel_cuda_implIfNS1_5distsIfE3twoEEEvPT_PKS6_S9_S9_S9_S6_lllllll,"axG",@progbits,_ZN2at6native12_GLOBAL__N_131cdist_backward_kernel_cuda_implIfNS1_5distsIfE3twoEEEvPT_PKS6_S9_S9_S9_S6_lllllll,comdat
	.globl	_ZN2at6native12_GLOBAL__N_131cdist_backward_kernel_cuda_implIfNS1_5distsIfE3twoEEEvPT_PKS6_S9_S9_S9_S6_lllllll ; -- Begin function _ZN2at6native12_GLOBAL__N_131cdist_backward_kernel_cuda_implIfNS1_5distsIfE3twoEEEvPT_PKS6_S9_S9_S9_S6_lllllll
	.p2align	8
	.type	_ZN2at6native12_GLOBAL__N_131cdist_backward_kernel_cuda_implIfNS1_5distsIfE3twoEEEvPT_PKS6_S9_S9_S9_S6_lllllll,@function
_ZN2at6native12_GLOBAL__N_131cdist_backward_kernel_cuda_implIfNS1_5distsIfE3twoEEEvPT_PKS6_S9_S9_S9_S6_lllllll: ; @_ZN2at6native12_GLOBAL__N_131cdist_backward_kernel_cuda_implIfNS1_5distsIfE3twoEEEvPT_PKS6_S9_S9_S9_S6_lllllll
; %bb.0:
	s_load_dwordx2 s[0:1], s[4:5], 0x70
	s_load_dwordx8 s[12:19], s[4:5], 0x30
	s_add_u32 s2, s4, 0x68
	s_addc_u32 s3, s5, 0
	s_waitcnt lgkmcnt(0)
	s_mul_i32 s0, s0, s7
	s_add_i32 s0, s0, s8
	s_lshr_b32 s7, s1, 16
	s_mul_i32 s0, s0, s7
	v_add_u32_e32 v2, s0, v1
	v_ashrrev_i32_e32 v3, 31, v2
	v_cmp_gt_i64_e32 vcc, s[18:19], v[2:3]
	s_and_saveexec_b64 s[8:9], vcc
	s_cbranch_execz .LBB38_14
; %bb.1:
	s_and_b32 s18, s1, 0xffff
	s_load_dwordx8 s[20:27], s[4:5], 0x50
	s_mul_i32 s6, s6, s18
	v_add_u32_e32 v0, s6, v0
	v_ashrrev_i32_e32 v1, 31, v0
	v_cmp_gt_i64_e32 vcc, s[16:17], v[0:1]
	s_and_b64 exec, exec, vcc
	s_cbranch_execz .LBB38_14
; %bb.2:
	s_waitcnt lgkmcnt(0)
	v_or_b32_e32 v5, s21, v3
	v_mov_b32_e32 v4, 0
	v_cmp_ne_u64_e32 vcc, 0, v[4:5]
                                        ; implicit-def: $vgpr4_vgpr5
	s_and_saveexec_b64 s[0:1], vcc
	s_xor_b64 s[6:7], exec, s[0:1]
	s_cbranch_execz .LBB38_4
; %bb.3:
	s_ashr_i32 s8, s21, 31
	s_add_u32 s0, s20, s8
	s_mov_b32 s9, s8
	s_addc_u32 s1, s21, s8
	s_xor_b64 s[10:11], s[0:1], s[8:9]
	v_cvt_f32_u32_e32 v4, s10
	v_cvt_f32_u32_e32 v5, s11
	s_sub_u32 s9, 0, s10
	s_subb_u32 s19, 0, s11
	v_ashrrev_i32_e32 v8, 31, v3
	v_madmk_f32 v4, v5, 0x4f800000, v4
	v_rcp_f32_e32 v4, v4
	v_mul_f32_e32 v4, 0x5f7ffffc, v4
	v_mul_f32_e32 v5, 0x2f800000, v4
	v_trunc_f32_e32 v5, v5
	v_madmk_f32 v4, v5, 0xcf800000, v4
	v_cvt_u32_f32_e32 v5, v5
	v_cvt_u32_f32_e32 v4, v4
	v_readfirstlane_b32 s26, v5
	v_readfirstlane_b32 s0, v4
	s_mul_i32 s1, s9, s26
	s_mul_hi_u32 s28, s9, s0
	s_mul_i32 s27, s19, s0
	s_add_i32 s1, s28, s1
	s_add_i32 s1, s1, s27
	s_mul_i32 s29, s9, s0
	s_mul_i32 s28, s0, s1
	s_mul_hi_u32 s30, s0, s29
	s_mul_hi_u32 s27, s0, s1
	s_add_u32 s28, s30, s28
	s_addc_u32 s27, 0, s27
	s_mul_hi_u32 s31, s26, s29
	s_mul_i32 s29, s26, s29
	s_add_u32 s28, s28, s29
	s_mul_hi_u32 s30, s26, s1
	s_addc_u32 s27, s27, s31
	s_addc_u32 s28, s30, 0
	s_mul_i32 s1, s26, s1
	s_add_u32 s1, s27, s1
	s_addc_u32 s27, 0, s28
	s_add_u32 s28, s0, s1
	s_cselect_b64 s[0:1], -1, 0
	s_cmp_lg_u64 s[0:1], 0
	s_addc_u32 s26, s26, s27
	s_mul_i32 s0, s9, s26
	s_mul_hi_u32 s1, s9, s28
	s_add_i32 s0, s1, s0
	s_mul_i32 s19, s19, s28
	s_add_i32 s0, s0, s19
	s_mul_i32 s9, s9, s28
	s_mul_hi_u32 s19, s26, s9
	s_mul_i32 s27, s26, s9
	s_mul_i32 s30, s28, s0
	s_mul_hi_u32 s9, s28, s9
	s_mul_hi_u32 s29, s28, s0
	s_add_u32 s9, s9, s30
	s_addc_u32 s29, 0, s29
	s_add_u32 s9, s9, s27
	s_mul_hi_u32 s1, s26, s0
	s_addc_u32 s9, s29, s19
	s_addc_u32 s1, s1, 0
	s_mul_i32 s0, s26, s0
	s_add_u32 s0, s9, s0
	s_addc_u32 s9, 0, s1
	s_add_u32 s19, s28, s0
	s_cselect_b64 s[0:1], -1, 0
	s_cmp_lg_u64 s[0:1], 0
	v_add_co_u32_e32 v4, vcc, v2, v8
	s_addc_u32 s9, s26, s9
	v_xor_b32_e32 v9, v4, v8
	v_mad_u64_u32 v[4:5], s[0:1], v9, s9, 0
	v_mul_hi_u32 v7, v9, s19
	v_addc_co_u32_e32 v6, vcc, v3, v8, vcc
	v_xor_b32_e32 v10, v6, v8
	v_add_co_u32_e32 v11, vcc, v7, v4
	v_addc_co_u32_e32 v12, vcc, 0, v5, vcc
	v_mad_u64_u32 v[4:5], s[0:1], v10, s19, 0
	v_mad_u64_u32 v[6:7], s[0:1], v10, s9, 0
	v_add_co_u32_e32 v4, vcc, v11, v4
	v_addc_co_u32_e32 v4, vcc, v12, v5, vcc
	v_addc_co_u32_e32 v5, vcc, 0, v7, vcc
	v_add_co_u32_e32 v6, vcc, v4, v6
	v_addc_co_u32_e32 v7, vcc, 0, v5, vcc
	v_mul_lo_u32 v11, s11, v6
	v_mul_lo_u32 v12, s10, v7
	v_mad_u64_u32 v[4:5], s[0:1], s10, v6, 0
	v_add3_u32 v5, v5, v12, v11
	v_sub_u32_e32 v11, v10, v5
	v_mov_b32_e32 v12, s11
	v_sub_co_u32_e32 v4, vcc, v9, v4
	v_subb_co_u32_e64 v9, s[0:1], v11, v12, vcc
	v_subrev_co_u32_e64 v11, s[0:1], s10, v4
	v_subbrev_co_u32_e64 v9, s[0:1], 0, v9, s[0:1]
	v_cmp_le_u32_e64 s[0:1], s11, v9
	v_cndmask_b32_e64 v12, 0, -1, s[0:1]
	v_cmp_le_u32_e64 s[0:1], s10, v11
	v_cndmask_b32_e64 v11, 0, -1, s[0:1]
	v_cmp_eq_u32_e64 s[0:1], s11, v9
	v_cndmask_b32_e64 v9, v12, v11, s[0:1]
	v_add_co_u32_e64 v11, s[0:1], 2, v6
	v_subb_co_u32_e32 v5, vcc, v10, v5, vcc
	v_addc_co_u32_e64 v12, s[0:1], 0, v7, s[0:1]
	v_cmp_le_u32_e32 vcc, s11, v5
	v_add_co_u32_e64 v13, s[0:1], 1, v6
	v_cndmask_b32_e64 v10, 0, -1, vcc
	v_cmp_le_u32_e32 vcc, s10, v4
	v_addc_co_u32_e64 v14, s[0:1], 0, v7, s[0:1]
	v_cndmask_b32_e64 v4, 0, -1, vcc
	v_cmp_eq_u32_e32 vcc, s11, v5
	v_cmp_ne_u32_e64 s[0:1], 0, v9
	v_cndmask_b32_e32 v4, v10, v4, vcc
	v_cndmask_b32_e64 v9, v14, v12, s[0:1]
	v_cmp_ne_u32_e32 vcc, 0, v4
	v_cndmask_b32_e64 v5, v13, v11, s[0:1]
	v_cndmask_b32_e32 v4, v7, v9, vcc
	v_cndmask_b32_e32 v5, v6, v5, vcc
	v_xor_b32_e32 v6, s8, v8
	v_xor_b32_e32 v7, v4, v6
	;; [unrolled: 1-line block ×3, first 2 shown]
	v_sub_co_u32_e32 v4, vcc, v4, v6
	v_subb_co_u32_e32 v5, vcc, v7, v6, vcc
.LBB38_4:
	s_andn2_saveexec_b64 s[0:1], s[6:7]
	s_cbranch_execz .LBB38_6
; %bb.5:
	v_cvt_f32_u32_e32 v4, s20
	s_sub_i32 s6, 0, s20
	v_rcp_iflag_f32_e32 v4, v4
	v_mul_f32_e32 v4, 0x4f7ffffe, v4
	v_cvt_u32_f32_e32 v4, v4
	v_mul_lo_u32 v5, s6, v4
	v_mul_hi_u32 v5, v4, v5
	v_add_u32_e32 v4, v4, v5
	v_mul_hi_u32 v4, v2, v4
	v_mul_lo_u32 v5, v4, s20
	v_add_u32_e32 v6, 1, v4
	v_sub_u32_e32 v5, v2, v5
	v_subrev_u32_e32 v7, s20, v5
	v_cmp_le_u32_e32 vcc, s20, v5
	v_cndmask_b32_e32 v5, v5, v7, vcc
	v_cndmask_b32_e32 v4, v4, v6, vcc
	v_add_u32_e32 v6, 1, v4
	v_cmp_le_u32_e32 vcc, s20, v5
	v_cndmask_b32_e32 v4, v4, v6, vcc
	v_mov_b32_e32 v5, 0
.LBB38_6:
	s_or_b64 exec, exec, s[0:1]
	v_mul_lo_u32 v7, v5, s20
	v_mul_lo_u32 v8, v4, s21
	v_mad_u64_u32 v[5:6], s[0:1], v4, s20, 0
	v_add3_u32 v6, v6, v8, v7
	v_sub_co_u32_e32 v8, vcc, v2, v5
	v_subb_co_u32_e32 v9, vcc, v3, v6, vcc
	v_or_b32_e32 v7, s15, v9
	v_mov_b32_e32 v6, 0
	v_cmp_ne_u64_e32 vcc, 0, v[6:7]
                                        ; implicit-def: $vgpr6_vgpr7
	s_and_saveexec_b64 s[0:1], vcc
	s_xor_b64 s[6:7], exec, s[0:1]
	s_cbranch_execz .LBB38_8
; %bb.7:
	s_ashr_i32 s8, s15, 31
	s_add_u32 s0, s14, s8
	s_mov_b32 s9, s8
	s_addc_u32 s1, s15, s8
	s_xor_b64 s[10:11], s[0:1], s[8:9]
	v_cvt_f32_u32_e32 v6, s10
	v_cvt_f32_u32_e32 v7, s11
	s_sub_u32 s9, 0, s10
	s_subb_u32 s19, 0, s11
	v_ashrrev_i32_e32 v12, 31, v9
	v_madmk_f32 v6, v7, 0x4f800000, v6
	v_rcp_f32_e32 v6, v6
	v_mul_f32_e32 v6, 0x5f7ffffc, v6
	v_mul_f32_e32 v7, 0x2f800000, v6
	v_trunc_f32_e32 v7, v7
	v_madmk_f32 v6, v7, 0xcf800000, v6
	v_cvt_u32_f32_e32 v7, v7
	v_cvt_u32_f32_e32 v6, v6
	v_readfirstlane_b32 s20, v7
	v_readfirstlane_b32 s0, v6
	s_mul_i32 s1, s9, s20
	s_mul_hi_u32 s26, s9, s0
	s_mul_i32 s21, s19, s0
	s_add_i32 s1, s26, s1
	s_add_i32 s1, s1, s21
	s_mul_i32 s27, s9, s0
	s_mul_i32 s26, s0, s1
	s_mul_hi_u32 s28, s0, s27
	s_mul_hi_u32 s21, s0, s1
	s_add_u32 s26, s28, s26
	s_addc_u32 s21, 0, s21
	s_mul_hi_u32 s29, s20, s27
	s_mul_i32 s27, s20, s27
	s_add_u32 s26, s26, s27
	s_mul_hi_u32 s28, s20, s1
	s_addc_u32 s21, s21, s29
	s_addc_u32 s26, s28, 0
	s_mul_i32 s1, s20, s1
	s_add_u32 s1, s21, s1
	s_addc_u32 s21, 0, s26
	s_add_u32 s26, s0, s1
	s_cselect_b64 s[0:1], -1, 0
	s_cmp_lg_u64 s[0:1], 0
	s_addc_u32 s20, s20, s21
	s_mul_i32 s0, s9, s20
	s_mul_hi_u32 s1, s9, s26
	s_add_i32 s0, s1, s0
	s_mul_i32 s19, s19, s26
	s_add_i32 s0, s0, s19
	s_mul_i32 s9, s9, s26
	s_mul_hi_u32 s19, s20, s9
	s_mul_i32 s21, s20, s9
	s_mul_i32 s28, s26, s0
	s_mul_hi_u32 s9, s26, s9
	s_mul_hi_u32 s27, s26, s0
	s_add_u32 s9, s9, s28
	s_addc_u32 s27, 0, s27
	s_add_u32 s9, s9, s21
	s_mul_hi_u32 s1, s20, s0
	s_addc_u32 s9, s27, s19
	s_addc_u32 s1, s1, 0
	s_mul_i32 s0, s20, s0
	s_add_u32 s0, s9, s0
	s_addc_u32 s9, 0, s1
	s_add_u32 s19, s26, s0
	s_cselect_b64 s[0:1], -1, 0
	s_cmp_lg_u64 s[0:1], 0
	v_add_co_u32_e32 v6, vcc, v8, v12
	s_addc_u32 s9, s20, s9
	v_xor_b32_e32 v13, v6, v12
	v_mad_u64_u32 v[6:7], s[0:1], v13, s9, 0
	v_mul_hi_u32 v11, v13, s19
	v_addc_co_u32_e32 v10, vcc, v9, v12, vcc
	v_xor_b32_e32 v14, v10, v12
	v_add_co_u32_e32 v15, vcc, v11, v6
	v_addc_co_u32_e32 v16, vcc, 0, v7, vcc
	v_mad_u64_u32 v[6:7], s[0:1], v14, s19, 0
	v_mad_u64_u32 v[10:11], s[0:1], v14, s9, 0
	v_add_co_u32_e32 v6, vcc, v15, v6
	v_addc_co_u32_e32 v6, vcc, v16, v7, vcc
	v_addc_co_u32_e32 v7, vcc, 0, v11, vcc
	v_add_co_u32_e32 v10, vcc, v6, v10
	v_addc_co_u32_e32 v11, vcc, 0, v7, vcc
	v_mul_lo_u32 v15, s11, v10
	v_mul_lo_u32 v16, s10, v11
	v_mad_u64_u32 v[6:7], s[0:1], s10, v10, 0
	v_add3_u32 v7, v7, v16, v15
	v_sub_u32_e32 v15, v14, v7
	v_mov_b32_e32 v16, s11
	v_sub_co_u32_e32 v6, vcc, v13, v6
	v_subb_co_u32_e64 v13, s[0:1], v15, v16, vcc
	v_subrev_co_u32_e64 v15, s[0:1], s10, v6
	v_subbrev_co_u32_e64 v13, s[0:1], 0, v13, s[0:1]
	v_cmp_le_u32_e64 s[0:1], s11, v13
	v_cndmask_b32_e64 v16, 0, -1, s[0:1]
	v_cmp_le_u32_e64 s[0:1], s10, v15
	v_cndmask_b32_e64 v15, 0, -1, s[0:1]
	v_cmp_eq_u32_e64 s[0:1], s11, v13
	v_cndmask_b32_e64 v13, v16, v15, s[0:1]
	v_add_co_u32_e64 v15, s[0:1], 2, v10
	v_subb_co_u32_e32 v7, vcc, v14, v7, vcc
	v_addc_co_u32_e64 v16, s[0:1], 0, v11, s[0:1]
	v_cmp_le_u32_e32 vcc, s11, v7
	v_add_co_u32_e64 v17, s[0:1], 1, v10
	v_cndmask_b32_e64 v14, 0, -1, vcc
	v_cmp_le_u32_e32 vcc, s10, v6
	v_addc_co_u32_e64 v18, s[0:1], 0, v11, s[0:1]
	v_cndmask_b32_e64 v6, 0, -1, vcc
	v_cmp_eq_u32_e32 vcc, s11, v7
	v_cmp_ne_u32_e64 s[0:1], 0, v13
	v_cndmask_b32_e32 v6, v14, v6, vcc
	v_cndmask_b32_e64 v13, v18, v16, s[0:1]
	v_cmp_ne_u32_e32 vcc, 0, v6
	v_cndmask_b32_e64 v7, v17, v15, s[0:1]
	v_cndmask_b32_e32 v6, v11, v13, vcc
	v_cndmask_b32_e32 v7, v10, v7, vcc
	v_xor_b32_e32 v10, s8, v12
	v_xor_b32_e32 v11, v6, v10
	;; [unrolled: 1-line block ×3, first 2 shown]
	v_sub_co_u32_e32 v6, vcc, v6, v10
	v_subb_co_u32_e32 v7, vcc, v11, v10, vcc
.LBB38_8:
	s_or_saveexec_b64 s[0:1], s[6:7]
	s_load_dword s2, s[2:3], 0x0
	s_xor_b64 exec, exec, s[0:1]
	s_cbranch_execz .LBB38_10
; %bb.9:
	v_cvt_f32_u32_e32 v6, s14
	s_sub_i32 s3, 0, s14
	v_rcp_iflag_f32_e32 v6, v6
	v_mul_f32_e32 v6, 0x4f7ffffe, v6
	v_cvt_u32_f32_e32 v6, v6
	v_mul_lo_u32 v7, s3, v6
	v_mul_hi_u32 v7, v6, v7
	v_add_u32_e32 v6, v6, v7
	v_mul_hi_u32 v6, v8, v6
	v_mul_lo_u32 v7, v6, s14
	v_add_u32_e32 v10, 1, v6
	v_sub_u32_e32 v7, v8, v7
	v_subrev_u32_e32 v11, s14, v7
	v_cmp_le_u32_e32 vcc, s14, v7
	v_cndmask_b32_e32 v7, v7, v11, vcc
	v_cndmask_b32_e32 v6, v6, v10, vcc
	v_add_u32_e32 v10, 1, v6
	v_cmp_le_u32_e32 vcc, s14, v7
	v_cndmask_b32_e32 v6, v6, v10, vcc
	v_mov_b32_e32 v7, 0
.LBB38_10:
	s_or_b64 exec, exec, s[0:1]
	s_load_dwordx8 s[36:43], s[4:5], 0x0
	s_load_dwordx2 s[0:1], s[4:5], 0x20
	v_lshlrev_b64 v[2:3], 2, v[2:3]
	v_ashrrev_i32_e32 v16, 31, v4
	v_mul_lo_u32 v17, v4, s23
	s_waitcnt lgkmcnt(0)
	v_mov_b32_e32 v10, s39
	v_add_co_u32_e32 v12, vcc, s38, v2
	v_addc_co_u32_e32 v13, vcc, v10, v3, vcc
	v_mov_b32_e32 v10, s1
	v_add_co_u32_e32 v2, vcc, s0, v2
	v_addc_co_u32_e32 v3, vcc, v10, v3, vcc
	global_load_dword v10, v[12:13], off
	global_load_dword v11, v[2:3], off
	v_mul_lo_u32 v18, v16, s22
	v_mad_u64_u32 v[14:15], s[0:1], v4, s22, 0
	v_mov_b32_e32 v12, s41
	v_lshlrev_b64 v[0:1], 2, v[0:1]
	v_add3_u32 v15, v15, v17, v18
	v_lshlrev_b64 v[2:3], 2, v[14:15]
	v_mul_lo_u32 v15, v6, s17
	v_add_co_u32_e32 v13, vcc, s40, v2
	v_addc_co_u32_e32 v14, vcc, v12, v3, vcc
	v_mul_lo_u32 v12, v7, s16
	v_mad_u64_u32 v[2:3], s[0:1], v6, s16, 0
	v_mul_lo_u32 v17, v6, s15
	s_lshl_b64 s[0:1], s[16:17], 2
	v_add3_u32 v3, v3, v15, v12
	v_lshlrev_b64 v[2:3], 2, v[2:3]
	v_mov_b32_e32 v18, s1
	v_add_co_u32_e32 v12, vcc, v13, v2
	v_addc_co_u32_e32 v13, vcc, v14, v3, vcc
	v_mul_lo_u32 v3, s16, v5
	v_mul_lo_u32 v5, v7, s14
	v_mad_u64_u32 v[14:15], s[4:5], v6, s14, 0
	v_mov_b32_e32 v2, 0
	v_ashrrev_i64 v[2:3], 30, v[2:3]
	v_add3_u32 v5, v15, v17, v5
	v_sub_co_u32_e32 v17, vcc, v8, v14
	v_subb_co_u32_e32 v19, vcc, v9, v5, vcc
	v_mul_lo_u32 v8, v17, s13
	v_mul_lo_u32 v9, v19, s12
	v_mad_u64_u32 v[5:6], s[4:5], v17, s12, v[6:7]
	v_add_co_u32_e32 v20, vcc, s36, v2
	v_add3_u32 v2, v9, v6, v8
	v_mul_lo_u32 v6, v2, s16
	v_mul_lo_u32 v9, v5, s17
	v_mad_u64_u32 v[7:8], s[4:5], v5, s16, 0
	v_mov_b32_e32 v15, s37
	v_addc_co_u32_e32 v21, vcc, v15, v3, vcc
	v_add_co_u32_e32 v2, vcc, s0, v12
	v_add3_u32 v8, v8, v9, v6
	v_mul_lo_u32 v9, v4, s25
	v_mul_lo_u32 v16, v16, s24
	v_mad_u64_u32 v[14:15], s[0:1], v4, s24, 0
	v_addc_co_u32_e32 v3, vcc, v13, v18, vcc
	v_add_co_u32_e32 v5, vcc, v12, v0
	v_lshlrev_b64 v[7:8], 2, v[7:8]
	v_addc_co_u32_e32 v6, vcc, v13, v1, vcc
	v_add_co_u32_e32 v4, vcc, v20, v7
	v_add3_u32 v15, v15, v9, v16
	v_addc_co_u32_e32 v7, vcc, v21, v8, vcc
	v_lshlrev_b64 v[8:9], 2, v[14:15]
	v_mul_lo_u32 v18, v19, s16
	v_mul_lo_u32 v19, v17, s17
	v_mad_u64_u32 v[14:15], s[0:1], v17, s16, 0
	v_mov_b32_e32 v16, s43
	v_add_co_u32_e32 v17, vcc, s42, v8
	v_add3_u32 v15, v15, v19, v18
	v_addc_co_u32_e32 v16, vcc, v16, v9, vcc
	v_lshlrev_b64 v[8:9], 2, v[14:15]
	s_mul_i32 s2, s2, s18
	v_add_co_u32_e32 v8, vcc, v17, v8
	s_ashr_i32 s3, s2, 31
	v_addc_co_u32_e32 v9, vcc, v16, v9, vcc
	s_waitcnt vmcnt(0)
	v_cmp_neq_f32_e64 s[0:1], 0, v11
	s_lshl_b64 s[2:3], s[2:3], 2
	s_mov_b64 s[4:5], 0
	s_branch .LBB38_12
.LBB38_11:                              ;   in Loop: Header=BB38_12 Depth=1
	s_or_b64 exec, exec, s[6:7]
	v_add_co_u32_e32 v15, vcc, v4, v0
	v_addc_co_u32_e32 v16, vcc, v7, v1, vcc
	v_mov_b32_e32 v17, s3
	v_add_co_u32_e32 v5, vcc, s2, v5
	v_addc_co_u32_e32 v6, vcc, v6, v17, vcc
	v_cmp_ge_u64_e32 vcc, v[5:6], v[2:3]
	global_store_dword v[15:16], v14, off
	s_or_b64 s[4:5], vcc, s[4:5]
	v_add_co_u32_e32 v0, vcc, s2, v0
	v_addc_co_u32_e32 v1, vcc, v1, v17, vcc
	s_andn2_b64 exec, exec, s[4:5]
	s_cbranch_execz .LBB38_14
.LBB38_12:                              ; =>This Inner Loop Header: Depth=1
	v_mov_b32_e32 v14, 0
	s_and_saveexec_b64 s[6:7], s[0:1]
	s_cbranch_execz .LBB38_11
; %bb.13:                               ;   in Loop: Header=BB38_12 Depth=1
	v_add_co_u32_e32 v14, vcc, v8, v0
	v_addc_co_u32_e32 v15, vcc, v9, v1, vcc
	v_add_co_u32_e32 v16, vcc, v12, v0
	v_addc_co_u32_e32 v17, vcc, v13, v1, vcc
	global_load_dword v18, v[16:17], off
	global_load_dword v19, v[14:15], off
	s_waitcnt vmcnt(0)
	v_sub_f32_e32 v14, v18, v19
	v_mul_f32_e32 v14, v10, v14
	v_div_scale_f32 v15, s[8:9], v11, v11, v14
	v_div_scale_f32 v16, vcc, v14, v11, v14
	v_rcp_f32_e32 v17, v15
	v_fma_f32 v18, -v15, v17, 1.0
	v_fmac_f32_e32 v17, v18, v17
	v_mul_f32_e32 v18, v16, v17
	v_fma_f32 v19, -v15, v18, v16
	v_fmac_f32_e32 v18, v19, v17
	v_fma_f32 v15, -v15, v18, v16
	v_div_fmas_f32 v15, v15, v17, v18
	v_div_fixup_f32 v14, v15, v11, v14
	s_branch .LBB38_11
.LBB38_14:
	s_endpgm
	.section	.rodata,"a",@progbits
	.p2align	6, 0x0
	.amdhsa_kernel _ZN2at6native12_GLOBAL__N_131cdist_backward_kernel_cuda_implIfNS1_5distsIfE3twoEEEvPT_PKS6_S9_S9_S9_S6_lllllll
		.amdhsa_group_segment_fixed_size 0
		.amdhsa_private_segment_fixed_size 0
		.amdhsa_kernarg_size 360
		.amdhsa_user_sgpr_count 6
		.amdhsa_user_sgpr_private_segment_buffer 1
		.amdhsa_user_sgpr_dispatch_ptr 0
		.amdhsa_user_sgpr_queue_ptr 0
		.amdhsa_user_sgpr_kernarg_segment_ptr 1
		.amdhsa_user_sgpr_dispatch_id 0
		.amdhsa_user_sgpr_flat_scratch_init 0
		.amdhsa_user_sgpr_private_segment_size 0
		.amdhsa_uses_dynamic_stack 0
		.amdhsa_system_sgpr_private_segment_wavefront_offset 0
		.amdhsa_system_sgpr_workgroup_id_x 1
		.amdhsa_system_sgpr_workgroup_id_y 1
		.amdhsa_system_sgpr_workgroup_id_z 1
		.amdhsa_system_sgpr_workgroup_info 0
		.amdhsa_system_vgpr_workitem_id 1
		.amdhsa_next_free_vgpr 22
		.amdhsa_next_free_sgpr 44
		.amdhsa_reserve_vcc 1
		.amdhsa_reserve_flat_scratch 0
		.amdhsa_float_round_mode_32 0
		.amdhsa_float_round_mode_16_64 0
		.amdhsa_float_denorm_mode_32 3
		.amdhsa_float_denorm_mode_16_64 3
		.amdhsa_dx10_clamp 1
		.amdhsa_ieee_mode 1
		.amdhsa_fp16_overflow 0
		.amdhsa_exception_fp_ieee_invalid_op 0
		.amdhsa_exception_fp_denorm_src 0
		.amdhsa_exception_fp_ieee_div_zero 0
		.amdhsa_exception_fp_ieee_overflow 0
		.amdhsa_exception_fp_ieee_underflow 0
		.amdhsa_exception_fp_ieee_inexact 0
		.amdhsa_exception_int_div_zero 0
	.end_amdhsa_kernel
	.section	.text._ZN2at6native12_GLOBAL__N_131cdist_backward_kernel_cuda_implIfNS1_5distsIfE3twoEEEvPT_PKS6_S9_S9_S9_S6_lllllll,"axG",@progbits,_ZN2at6native12_GLOBAL__N_131cdist_backward_kernel_cuda_implIfNS1_5distsIfE3twoEEEvPT_PKS6_S9_S9_S9_S6_lllllll,comdat
.Lfunc_end38:
	.size	_ZN2at6native12_GLOBAL__N_131cdist_backward_kernel_cuda_implIfNS1_5distsIfE3twoEEEvPT_PKS6_S9_S9_S9_S6_lllllll, .Lfunc_end38-_ZN2at6native12_GLOBAL__N_131cdist_backward_kernel_cuda_implIfNS1_5distsIfE3twoEEEvPT_PKS6_S9_S9_S9_S6_lllllll
                                        ; -- End function
	.set _ZN2at6native12_GLOBAL__N_131cdist_backward_kernel_cuda_implIfNS1_5distsIfE3twoEEEvPT_PKS6_S9_S9_S9_S6_lllllll.num_vgpr, 22
	.set _ZN2at6native12_GLOBAL__N_131cdist_backward_kernel_cuda_implIfNS1_5distsIfE3twoEEEvPT_PKS6_S9_S9_S9_S6_lllllll.num_agpr, 0
	.set _ZN2at6native12_GLOBAL__N_131cdist_backward_kernel_cuda_implIfNS1_5distsIfE3twoEEEvPT_PKS6_S9_S9_S9_S6_lllllll.numbered_sgpr, 44
	.set _ZN2at6native12_GLOBAL__N_131cdist_backward_kernel_cuda_implIfNS1_5distsIfE3twoEEEvPT_PKS6_S9_S9_S9_S6_lllllll.num_named_barrier, 0
	.set _ZN2at6native12_GLOBAL__N_131cdist_backward_kernel_cuda_implIfNS1_5distsIfE3twoEEEvPT_PKS6_S9_S9_S9_S6_lllllll.private_seg_size, 0
	.set _ZN2at6native12_GLOBAL__N_131cdist_backward_kernel_cuda_implIfNS1_5distsIfE3twoEEEvPT_PKS6_S9_S9_S9_S6_lllllll.uses_vcc, 1
	.set _ZN2at6native12_GLOBAL__N_131cdist_backward_kernel_cuda_implIfNS1_5distsIfE3twoEEEvPT_PKS6_S9_S9_S9_S6_lllllll.uses_flat_scratch, 0
	.set _ZN2at6native12_GLOBAL__N_131cdist_backward_kernel_cuda_implIfNS1_5distsIfE3twoEEEvPT_PKS6_S9_S9_S9_S6_lllllll.has_dyn_sized_stack, 0
	.set _ZN2at6native12_GLOBAL__N_131cdist_backward_kernel_cuda_implIfNS1_5distsIfE3twoEEEvPT_PKS6_S9_S9_S9_S6_lllllll.has_recursion, 0
	.set _ZN2at6native12_GLOBAL__N_131cdist_backward_kernel_cuda_implIfNS1_5distsIfE3twoEEEvPT_PKS6_S9_S9_S9_S6_lllllll.has_indirect_call, 0
	.section	.AMDGPU.csdata,"",@progbits
; Kernel info:
; codeLenInByte = 2340
; TotalNumSgprs: 48
; NumVgprs: 22
; ScratchSize: 0
; MemoryBound: 0
; FloatMode: 240
; IeeeMode: 1
; LDSByteSize: 0 bytes/workgroup (compile time only)
; SGPRBlocks: 5
; VGPRBlocks: 5
; NumSGPRsForWavesPerEU: 48
; NumVGPRsForWavesPerEU: 22
; Occupancy: 10
; WaveLimiterHint : 0
; COMPUTE_PGM_RSRC2:SCRATCH_EN: 0
; COMPUTE_PGM_RSRC2:USER_SGPR: 6
; COMPUTE_PGM_RSRC2:TRAP_HANDLER: 0
; COMPUTE_PGM_RSRC2:TGID_X_EN: 1
; COMPUTE_PGM_RSRC2:TGID_Y_EN: 1
; COMPUTE_PGM_RSRC2:TGID_Z_EN: 1
; COMPUTE_PGM_RSRC2:TIDIG_COMP_CNT: 1
	.section	.text._ZN2at6native12_GLOBAL__N_131cdist_backward_kernel_cuda_implIfNS1_5distsIfE3infEEEvPT_PKS6_S9_S9_S9_S6_lllllll,"axG",@progbits,_ZN2at6native12_GLOBAL__N_131cdist_backward_kernel_cuda_implIfNS1_5distsIfE3infEEEvPT_PKS6_S9_S9_S9_S6_lllllll,comdat
	.globl	_ZN2at6native12_GLOBAL__N_131cdist_backward_kernel_cuda_implIfNS1_5distsIfE3infEEEvPT_PKS6_S9_S9_S9_S6_lllllll ; -- Begin function _ZN2at6native12_GLOBAL__N_131cdist_backward_kernel_cuda_implIfNS1_5distsIfE3infEEEvPT_PKS6_S9_S9_S9_S6_lllllll
	.p2align	8
	.type	_ZN2at6native12_GLOBAL__N_131cdist_backward_kernel_cuda_implIfNS1_5distsIfE3infEEEvPT_PKS6_S9_S9_S9_S6_lllllll,@function
_ZN2at6native12_GLOBAL__N_131cdist_backward_kernel_cuda_implIfNS1_5distsIfE3infEEEvPT_PKS6_S9_S9_S9_S6_lllllll: ; @_ZN2at6native12_GLOBAL__N_131cdist_backward_kernel_cuda_implIfNS1_5distsIfE3infEEEvPT_PKS6_S9_S9_S9_S6_lllllll
; %bb.0:
	s_load_dwordx2 s[0:1], s[4:5], 0x70
	s_load_dwordx8 s[12:19], s[4:5], 0x30
	s_add_u32 s2, s4, 0x68
	s_addc_u32 s3, s5, 0
	s_waitcnt lgkmcnt(0)
	s_mul_i32 s0, s0, s7
	s_add_i32 s0, s0, s8
	s_lshr_b32 s7, s1, 16
	s_mul_i32 s0, s0, s7
	v_add_u32_e32 v2, s0, v1
	v_ashrrev_i32_e32 v3, 31, v2
	v_cmp_gt_i64_e32 vcc, s[18:19], v[2:3]
	s_and_saveexec_b64 s[8:9], vcc
	s_cbranch_execz .LBB39_12
; %bb.1:
	s_and_b32 s18, s1, 0xffff
	s_load_dwordx8 s[20:27], s[4:5], 0x50
	s_mul_i32 s6, s6, s18
	v_add_u32_e32 v0, s6, v0
	v_ashrrev_i32_e32 v1, 31, v0
	v_cmp_gt_i64_e32 vcc, s[16:17], v[0:1]
	s_and_b64 exec, exec, vcc
	s_cbranch_execz .LBB39_12
; %bb.2:
	s_waitcnt lgkmcnt(0)
	v_or_b32_e32 v5, s21, v3
	v_mov_b32_e32 v4, 0
	v_cmp_ne_u64_e32 vcc, 0, v[4:5]
                                        ; implicit-def: $vgpr4_vgpr5
	s_and_saveexec_b64 s[0:1], vcc
	s_xor_b64 s[6:7], exec, s[0:1]
	s_cbranch_execz .LBB39_4
; %bb.3:
	s_ashr_i32 s8, s21, 31
	s_add_u32 s0, s20, s8
	s_mov_b32 s9, s8
	s_addc_u32 s1, s21, s8
	s_xor_b64 s[10:11], s[0:1], s[8:9]
	v_cvt_f32_u32_e32 v4, s10
	v_cvt_f32_u32_e32 v5, s11
	s_sub_u32 s9, 0, s10
	s_subb_u32 s19, 0, s11
	v_ashrrev_i32_e32 v8, 31, v3
	v_madmk_f32 v4, v5, 0x4f800000, v4
	v_rcp_f32_e32 v4, v4
	v_mul_f32_e32 v4, 0x5f7ffffc, v4
	v_mul_f32_e32 v5, 0x2f800000, v4
	v_trunc_f32_e32 v5, v5
	v_madmk_f32 v4, v5, 0xcf800000, v4
	v_cvt_u32_f32_e32 v5, v5
	v_cvt_u32_f32_e32 v4, v4
	v_readfirstlane_b32 s26, v5
	v_readfirstlane_b32 s0, v4
	s_mul_i32 s1, s9, s26
	s_mul_hi_u32 s28, s9, s0
	s_mul_i32 s27, s19, s0
	s_add_i32 s1, s28, s1
	s_add_i32 s1, s1, s27
	s_mul_i32 s29, s9, s0
	s_mul_i32 s28, s0, s1
	s_mul_hi_u32 s30, s0, s29
	s_mul_hi_u32 s27, s0, s1
	s_add_u32 s28, s30, s28
	s_addc_u32 s27, 0, s27
	s_mul_hi_u32 s31, s26, s29
	s_mul_i32 s29, s26, s29
	s_add_u32 s28, s28, s29
	s_mul_hi_u32 s30, s26, s1
	s_addc_u32 s27, s27, s31
	s_addc_u32 s28, s30, 0
	s_mul_i32 s1, s26, s1
	s_add_u32 s1, s27, s1
	s_addc_u32 s27, 0, s28
	s_add_u32 s28, s0, s1
	s_cselect_b64 s[0:1], -1, 0
	s_cmp_lg_u64 s[0:1], 0
	s_addc_u32 s26, s26, s27
	s_mul_i32 s0, s9, s26
	s_mul_hi_u32 s1, s9, s28
	s_add_i32 s0, s1, s0
	s_mul_i32 s19, s19, s28
	s_add_i32 s0, s0, s19
	s_mul_i32 s9, s9, s28
	s_mul_hi_u32 s19, s26, s9
	s_mul_i32 s27, s26, s9
	s_mul_i32 s30, s28, s0
	s_mul_hi_u32 s9, s28, s9
	s_mul_hi_u32 s29, s28, s0
	s_add_u32 s9, s9, s30
	s_addc_u32 s29, 0, s29
	s_add_u32 s9, s9, s27
	s_mul_hi_u32 s1, s26, s0
	s_addc_u32 s9, s29, s19
	s_addc_u32 s1, s1, 0
	s_mul_i32 s0, s26, s0
	s_add_u32 s0, s9, s0
	s_addc_u32 s9, 0, s1
	s_add_u32 s19, s28, s0
	s_cselect_b64 s[0:1], -1, 0
	s_cmp_lg_u64 s[0:1], 0
	v_add_co_u32_e32 v4, vcc, v2, v8
	s_addc_u32 s9, s26, s9
	v_xor_b32_e32 v9, v4, v8
	v_mad_u64_u32 v[4:5], s[0:1], v9, s9, 0
	v_mul_hi_u32 v7, v9, s19
	v_addc_co_u32_e32 v6, vcc, v3, v8, vcc
	v_xor_b32_e32 v10, v6, v8
	v_add_co_u32_e32 v11, vcc, v7, v4
	v_addc_co_u32_e32 v12, vcc, 0, v5, vcc
	v_mad_u64_u32 v[4:5], s[0:1], v10, s19, 0
	v_mad_u64_u32 v[6:7], s[0:1], v10, s9, 0
	v_add_co_u32_e32 v4, vcc, v11, v4
	v_addc_co_u32_e32 v4, vcc, v12, v5, vcc
	v_addc_co_u32_e32 v5, vcc, 0, v7, vcc
	v_add_co_u32_e32 v6, vcc, v4, v6
	v_addc_co_u32_e32 v7, vcc, 0, v5, vcc
	v_mul_lo_u32 v11, s11, v6
	v_mul_lo_u32 v12, s10, v7
	v_mad_u64_u32 v[4:5], s[0:1], s10, v6, 0
	v_add3_u32 v5, v5, v12, v11
	v_sub_u32_e32 v11, v10, v5
	v_mov_b32_e32 v12, s11
	v_sub_co_u32_e32 v4, vcc, v9, v4
	v_subb_co_u32_e64 v9, s[0:1], v11, v12, vcc
	v_subrev_co_u32_e64 v11, s[0:1], s10, v4
	v_subbrev_co_u32_e64 v9, s[0:1], 0, v9, s[0:1]
	v_cmp_le_u32_e64 s[0:1], s11, v9
	v_cndmask_b32_e64 v12, 0, -1, s[0:1]
	v_cmp_le_u32_e64 s[0:1], s10, v11
	v_cndmask_b32_e64 v11, 0, -1, s[0:1]
	v_cmp_eq_u32_e64 s[0:1], s11, v9
	v_cndmask_b32_e64 v9, v12, v11, s[0:1]
	v_add_co_u32_e64 v11, s[0:1], 2, v6
	v_subb_co_u32_e32 v5, vcc, v10, v5, vcc
	v_addc_co_u32_e64 v12, s[0:1], 0, v7, s[0:1]
	v_cmp_le_u32_e32 vcc, s11, v5
	v_add_co_u32_e64 v13, s[0:1], 1, v6
	v_cndmask_b32_e64 v10, 0, -1, vcc
	v_cmp_le_u32_e32 vcc, s10, v4
	v_addc_co_u32_e64 v14, s[0:1], 0, v7, s[0:1]
	v_cndmask_b32_e64 v4, 0, -1, vcc
	v_cmp_eq_u32_e32 vcc, s11, v5
	v_cmp_ne_u32_e64 s[0:1], 0, v9
	v_cndmask_b32_e32 v4, v10, v4, vcc
	v_cndmask_b32_e64 v9, v14, v12, s[0:1]
	v_cmp_ne_u32_e32 vcc, 0, v4
	v_cndmask_b32_e64 v5, v13, v11, s[0:1]
	v_cndmask_b32_e32 v4, v7, v9, vcc
	v_cndmask_b32_e32 v5, v6, v5, vcc
	v_xor_b32_e32 v6, s8, v8
	v_xor_b32_e32 v7, v4, v6
	;; [unrolled: 1-line block ×3, first 2 shown]
	v_sub_co_u32_e32 v4, vcc, v4, v6
	v_subb_co_u32_e32 v5, vcc, v7, v6, vcc
.LBB39_4:
	s_andn2_saveexec_b64 s[0:1], s[6:7]
	s_cbranch_execz .LBB39_6
; %bb.5:
	v_cvt_f32_u32_e32 v4, s20
	s_sub_i32 s6, 0, s20
	v_rcp_iflag_f32_e32 v4, v4
	v_mul_f32_e32 v4, 0x4f7ffffe, v4
	v_cvt_u32_f32_e32 v4, v4
	v_mul_lo_u32 v5, s6, v4
	v_mul_hi_u32 v5, v4, v5
	v_add_u32_e32 v4, v4, v5
	v_mul_hi_u32 v4, v2, v4
	v_mul_lo_u32 v5, v4, s20
	v_add_u32_e32 v6, 1, v4
	v_sub_u32_e32 v5, v2, v5
	v_subrev_u32_e32 v7, s20, v5
	v_cmp_le_u32_e32 vcc, s20, v5
	v_cndmask_b32_e32 v5, v5, v7, vcc
	v_cndmask_b32_e32 v4, v4, v6, vcc
	v_add_u32_e32 v6, 1, v4
	v_cmp_le_u32_e32 vcc, s20, v5
	v_cndmask_b32_e32 v4, v4, v6, vcc
	v_mov_b32_e32 v5, 0
.LBB39_6:
	s_or_b64 exec, exec, s[0:1]
	v_mul_lo_u32 v7, v5, s20
	v_mul_lo_u32 v8, v4, s21
	v_mad_u64_u32 v[5:6], s[0:1], v4, s20, 0
	v_add3_u32 v6, v6, v8, v7
	v_sub_co_u32_e32 v8, vcc, v2, v5
	v_subb_co_u32_e32 v9, vcc, v3, v6, vcc
	v_or_b32_e32 v7, s15, v9
	v_mov_b32_e32 v6, 0
	v_cmp_ne_u64_e32 vcc, 0, v[6:7]
                                        ; implicit-def: $vgpr6_vgpr7
	s_and_saveexec_b64 s[0:1], vcc
	s_xor_b64 s[6:7], exec, s[0:1]
	s_cbranch_execz .LBB39_8
; %bb.7:
	s_ashr_i32 s8, s15, 31
	s_add_u32 s0, s14, s8
	s_mov_b32 s9, s8
	s_addc_u32 s1, s15, s8
	s_xor_b64 s[10:11], s[0:1], s[8:9]
	v_cvt_f32_u32_e32 v6, s10
	v_cvt_f32_u32_e32 v7, s11
	s_sub_u32 s9, 0, s10
	s_subb_u32 s19, 0, s11
	v_ashrrev_i32_e32 v12, 31, v9
	v_madmk_f32 v6, v7, 0x4f800000, v6
	v_rcp_f32_e32 v6, v6
	v_mul_f32_e32 v6, 0x5f7ffffc, v6
	v_mul_f32_e32 v7, 0x2f800000, v6
	v_trunc_f32_e32 v7, v7
	v_madmk_f32 v6, v7, 0xcf800000, v6
	v_cvt_u32_f32_e32 v7, v7
	v_cvt_u32_f32_e32 v6, v6
	v_readfirstlane_b32 s20, v7
	v_readfirstlane_b32 s0, v6
	s_mul_i32 s1, s9, s20
	s_mul_hi_u32 s26, s9, s0
	s_mul_i32 s21, s19, s0
	s_add_i32 s1, s26, s1
	s_add_i32 s1, s1, s21
	s_mul_i32 s27, s9, s0
	s_mul_i32 s26, s0, s1
	s_mul_hi_u32 s28, s0, s27
	s_mul_hi_u32 s21, s0, s1
	s_add_u32 s26, s28, s26
	s_addc_u32 s21, 0, s21
	s_mul_hi_u32 s29, s20, s27
	s_mul_i32 s27, s20, s27
	s_add_u32 s26, s26, s27
	s_mul_hi_u32 s28, s20, s1
	s_addc_u32 s21, s21, s29
	s_addc_u32 s26, s28, 0
	s_mul_i32 s1, s20, s1
	s_add_u32 s1, s21, s1
	s_addc_u32 s21, 0, s26
	s_add_u32 s26, s0, s1
	s_cselect_b64 s[0:1], -1, 0
	s_cmp_lg_u64 s[0:1], 0
	s_addc_u32 s20, s20, s21
	s_mul_i32 s0, s9, s20
	s_mul_hi_u32 s1, s9, s26
	s_add_i32 s0, s1, s0
	s_mul_i32 s19, s19, s26
	s_add_i32 s0, s0, s19
	s_mul_i32 s9, s9, s26
	s_mul_hi_u32 s19, s20, s9
	s_mul_i32 s21, s20, s9
	s_mul_i32 s28, s26, s0
	s_mul_hi_u32 s9, s26, s9
	s_mul_hi_u32 s27, s26, s0
	s_add_u32 s9, s9, s28
	s_addc_u32 s27, 0, s27
	s_add_u32 s9, s9, s21
	s_mul_hi_u32 s1, s20, s0
	s_addc_u32 s9, s27, s19
	s_addc_u32 s1, s1, 0
	s_mul_i32 s0, s20, s0
	s_add_u32 s0, s9, s0
	s_addc_u32 s9, 0, s1
	s_add_u32 s19, s26, s0
	s_cselect_b64 s[0:1], -1, 0
	s_cmp_lg_u64 s[0:1], 0
	v_add_co_u32_e32 v6, vcc, v8, v12
	s_addc_u32 s9, s20, s9
	v_xor_b32_e32 v13, v6, v12
	v_mad_u64_u32 v[6:7], s[0:1], v13, s9, 0
	v_mul_hi_u32 v11, v13, s19
	v_addc_co_u32_e32 v10, vcc, v9, v12, vcc
	v_xor_b32_e32 v14, v10, v12
	v_add_co_u32_e32 v15, vcc, v11, v6
	v_addc_co_u32_e32 v16, vcc, 0, v7, vcc
	v_mad_u64_u32 v[6:7], s[0:1], v14, s19, 0
	v_mad_u64_u32 v[10:11], s[0:1], v14, s9, 0
	v_add_co_u32_e32 v6, vcc, v15, v6
	v_addc_co_u32_e32 v6, vcc, v16, v7, vcc
	v_addc_co_u32_e32 v7, vcc, 0, v11, vcc
	v_add_co_u32_e32 v10, vcc, v6, v10
	v_addc_co_u32_e32 v11, vcc, 0, v7, vcc
	v_mul_lo_u32 v15, s11, v10
	v_mul_lo_u32 v16, s10, v11
	v_mad_u64_u32 v[6:7], s[0:1], s10, v10, 0
	v_add3_u32 v7, v7, v16, v15
	v_sub_u32_e32 v15, v14, v7
	v_mov_b32_e32 v16, s11
	v_sub_co_u32_e32 v6, vcc, v13, v6
	v_subb_co_u32_e64 v13, s[0:1], v15, v16, vcc
	v_subrev_co_u32_e64 v15, s[0:1], s10, v6
	v_subbrev_co_u32_e64 v13, s[0:1], 0, v13, s[0:1]
	v_cmp_le_u32_e64 s[0:1], s11, v13
	v_cndmask_b32_e64 v16, 0, -1, s[0:1]
	v_cmp_le_u32_e64 s[0:1], s10, v15
	v_cndmask_b32_e64 v15, 0, -1, s[0:1]
	v_cmp_eq_u32_e64 s[0:1], s11, v13
	v_cndmask_b32_e64 v13, v16, v15, s[0:1]
	v_add_co_u32_e64 v15, s[0:1], 2, v10
	v_subb_co_u32_e32 v7, vcc, v14, v7, vcc
	v_addc_co_u32_e64 v16, s[0:1], 0, v11, s[0:1]
	v_cmp_le_u32_e32 vcc, s11, v7
	v_add_co_u32_e64 v17, s[0:1], 1, v10
	v_cndmask_b32_e64 v14, 0, -1, vcc
	v_cmp_le_u32_e32 vcc, s10, v6
	v_addc_co_u32_e64 v18, s[0:1], 0, v11, s[0:1]
	v_cndmask_b32_e64 v6, 0, -1, vcc
	v_cmp_eq_u32_e32 vcc, s11, v7
	v_cmp_ne_u32_e64 s[0:1], 0, v13
	v_cndmask_b32_e32 v6, v14, v6, vcc
	v_cndmask_b32_e64 v13, v18, v16, s[0:1]
	v_cmp_ne_u32_e32 vcc, 0, v6
	v_cndmask_b32_e64 v7, v17, v15, s[0:1]
	v_cndmask_b32_e32 v6, v11, v13, vcc
	v_cndmask_b32_e32 v7, v10, v7, vcc
	v_xor_b32_e32 v10, s8, v12
	v_xor_b32_e32 v11, v6, v10
	;; [unrolled: 1-line block ×3, first 2 shown]
	v_sub_co_u32_e32 v6, vcc, v6, v10
	v_subb_co_u32_e32 v7, vcc, v11, v10, vcc
.LBB39_8:
	s_or_saveexec_b64 s[0:1], s[6:7]
	s_load_dword s2, s[2:3], 0x0
	s_xor_b64 exec, exec, s[0:1]
	s_cbranch_execz .LBB39_10
; %bb.9:
	v_cvt_f32_u32_e32 v6, s14
	s_sub_i32 s3, 0, s14
	v_rcp_iflag_f32_e32 v6, v6
	v_mul_f32_e32 v6, 0x4f7ffffe, v6
	v_cvt_u32_f32_e32 v6, v6
	v_mul_lo_u32 v7, s3, v6
	v_mul_hi_u32 v7, v6, v7
	v_add_u32_e32 v6, v6, v7
	v_mul_hi_u32 v6, v8, v6
	v_mul_lo_u32 v7, v6, s14
	v_add_u32_e32 v10, 1, v6
	v_sub_u32_e32 v7, v8, v7
	v_subrev_u32_e32 v11, s14, v7
	v_cmp_le_u32_e32 vcc, s14, v7
	v_cndmask_b32_e32 v7, v7, v11, vcc
	v_cndmask_b32_e32 v6, v6, v10, vcc
	v_add_u32_e32 v10, 1, v6
	v_cmp_le_u32_e32 vcc, s14, v7
	v_cndmask_b32_e32 v6, v6, v10, vcc
	v_mov_b32_e32 v7, 0
.LBB39_10:
	s_or_b64 exec, exec, s[0:1]
	s_load_dwordx8 s[36:43], s[4:5], 0x0
	s_load_dwordx2 s[0:1], s[4:5], 0x20
	v_lshlrev_b64 v[2:3], 2, v[2:3]
	v_ashrrev_i32_e32 v16, 31, v4
	v_mul_lo_u32 v17, v4, s23
	s_waitcnt lgkmcnt(0)
	v_mov_b32_e32 v10, s39
	v_add_co_u32_e32 v12, vcc, s38, v2
	v_addc_co_u32_e32 v13, vcc, v10, v3, vcc
	v_mov_b32_e32 v10, s1
	v_add_co_u32_e32 v2, vcc, s0, v2
	v_addc_co_u32_e32 v3, vcc, v10, v3, vcc
	global_load_dword v10, v[12:13], off
	global_load_dword v11, v[2:3], off
	v_mul_lo_u32 v18, v16, s22
	v_mad_u64_u32 v[14:15], s[0:1], v4, s22, 0
	v_mov_b32_e32 v12, s41
	v_lshlrev_b64 v[0:1], 2, v[0:1]
	v_add3_u32 v15, v15, v17, v18
	v_lshlrev_b64 v[2:3], 2, v[14:15]
	v_mul_lo_u32 v15, v6, s17
	v_add_co_u32_e32 v13, vcc, s40, v2
	v_addc_co_u32_e32 v14, vcc, v12, v3, vcc
	v_mul_lo_u32 v12, v7, s16
	v_mad_u64_u32 v[2:3], s[0:1], v6, s16, 0
	v_mul_lo_u32 v17, v6, s15
	s_lshl_b64 s[0:1], s[16:17], 2
	v_add3_u32 v3, v3, v15, v12
	v_lshlrev_b64 v[2:3], 2, v[2:3]
	v_mov_b32_e32 v18, s1
	v_add_co_u32_e32 v12, vcc, v13, v2
	v_addc_co_u32_e32 v13, vcc, v14, v3, vcc
	v_mul_lo_u32 v3, s16, v5
	v_mul_lo_u32 v5, v7, s14
	v_mad_u64_u32 v[14:15], s[4:5], v6, s14, 0
	v_mov_b32_e32 v2, 0
	v_ashrrev_i64 v[2:3], 30, v[2:3]
	v_add3_u32 v5, v15, v17, v5
	v_sub_co_u32_e32 v17, vcc, v8, v14
	v_subb_co_u32_e32 v19, vcc, v9, v5, vcc
	v_mul_lo_u32 v8, v17, s13
	v_mul_lo_u32 v9, v19, s12
	v_mad_u64_u32 v[5:6], s[4:5], v17, s12, v[6:7]
	v_add_co_u32_e32 v20, vcc, s36, v2
	v_add3_u32 v2, v9, v6, v8
	v_mul_lo_u32 v6, v2, s16
	v_mul_lo_u32 v9, v5, s17
	v_mad_u64_u32 v[7:8], s[4:5], v5, s16, 0
	v_mov_b32_e32 v15, s37
	v_addc_co_u32_e32 v21, vcc, v15, v3, vcc
	v_add_co_u32_e32 v2, vcc, s0, v12
	v_add3_u32 v8, v8, v9, v6
	v_mul_lo_u32 v9, v4, s25
	v_mul_lo_u32 v16, v16, s24
	v_mad_u64_u32 v[14:15], s[0:1], v4, s24, 0
	v_addc_co_u32_e32 v3, vcc, v13, v18, vcc
	v_add_co_u32_e32 v5, vcc, v12, v0
	v_lshlrev_b64 v[7:8], 2, v[7:8]
	v_addc_co_u32_e32 v6, vcc, v13, v1, vcc
	v_add_co_u32_e32 v4, vcc, v20, v7
	v_add3_u32 v15, v15, v9, v16
	v_addc_co_u32_e32 v7, vcc, v21, v8, vcc
	v_lshlrev_b64 v[8:9], 2, v[14:15]
	v_mul_lo_u32 v18, v19, s16
	v_mul_lo_u32 v19, v17, s17
	v_mad_u64_u32 v[14:15], s[0:1], v17, s16, 0
	v_mov_b32_e32 v16, s43
	v_add_co_u32_e32 v17, vcc, s42, v8
	v_add3_u32 v15, v15, v19, v18
	v_addc_co_u32_e32 v16, vcc, v16, v9, vcc
	v_lshlrev_b64 v[8:9], 2, v[14:15]
	s_mul_i32 s0, s2, s18
	v_add_co_u32_e32 v8, vcc, v17, v8
	s_ashr_i32 s1, s0, 31
	v_addc_co_u32_e32 v9, vcc, v16, v9, vcc
	s_lshl_b64 s[2:3], s[0:1], 2
	s_mov_b64 s[4:5], 0
.LBB39_11:                              ; =>This Inner Loop Header: Depth=1
	v_add_co_u32_e32 v14, vcc, v8, v0
	v_addc_co_u32_e32 v15, vcc, v9, v1, vcc
	v_add_co_u32_e32 v16, vcc, v12, v0
	v_addc_co_u32_e32 v17, vcc, v13, v1, vcc
	global_load_dword v18, v[16:17], off
	global_load_dword v19, v[14:15], off
	v_add_co_u32_e32 v14, vcc, v4, v0
	v_addc_co_u32_e32 v15, vcc, v7, v1, vcc
	v_mov_b32_e32 v16, s3
	v_add_co_u32_e32 v0, vcc, s2, v0
	v_add_co_u32_e64 v5, s[0:1], s2, v5
	v_addc_co_u32_e64 v6, s[0:1], v6, v16, s[0:1]
	v_addc_co_u32_e32 v1, vcc, v1, v16, vcc
	v_cmp_ge_u64_e32 vcc, v[5:6], v[2:3]
	s_or_b64 s[4:5], vcc, s[4:5]
	s_waitcnt vmcnt(0)
	v_sub_f32_e32 v16, v18, v19
	v_cmp_lt_f32_e64 s[0:1], 0, v16
	v_cndmask_b32_e64 v17, 0, 1, s[0:1]
	v_cmp_gt_f32_e64 s[0:1], 0, v16
	v_subbrev_co_u32_e64 v17, s[0:1], 0, v17, s[0:1]
	v_cvt_f32_i32_e32 v17, v17
	v_cmp_eq_f32_e64 s[0:1], |v16|, v11
	v_cndmask_b32_e64 v16, 0, 1.0, s[0:1]
	v_mul_f32_e32 v17, v10, v17
	v_mul_f32_e32 v16, v17, v16
	global_store_dword v[14:15], v16, off
	s_andn2_b64 exec, exec, s[4:5]
	s_cbranch_execnz .LBB39_11
.LBB39_12:
	s_endpgm
	.section	.rodata,"a",@progbits
	.p2align	6, 0x0
	.amdhsa_kernel _ZN2at6native12_GLOBAL__N_131cdist_backward_kernel_cuda_implIfNS1_5distsIfE3infEEEvPT_PKS6_S9_S9_S9_S6_lllllll
		.amdhsa_group_segment_fixed_size 0
		.amdhsa_private_segment_fixed_size 0
		.amdhsa_kernarg_size 360
		.amdhsa_user_sgpr_count 6
		.amdhsa_user_sgpr_private_segment_buffer 1
		.amdhsa_user_sgpr_dispatch_ptr 0
		.amdhsa_user_sgpr_queue_ptr 0
		.amdhsa_user_sgpr_kernarg_segment_ptr 1
		.amdhsa_user_sgpr_dispatch_id 0
		.amdhsa_user_sgpr_flat_scratch_init 0
		.amdhsa_user_sgpr_private_segment_size 0
		.amdhsa_uses_dynamic_stack 0
		.amdhsa_system_sgpr_private_segment_wavefront_offset 0
		.amdhsa_system_sgpr_workgroup_id_x 1
		.amdhsa_system_sgpr_workgroup_id_y 1
		.amdhsa_system_sgpr_workgroup_id_z 1
		.amdhsa_system_sgpr_workgroup_info 0
		.amdhsa_system_vgpr_workitem_id 1
		.amdhsa_next_free_vgpr 22
		.amdhsa_next_free_sgpr 44
		.amdhsa_reserve_vcc 1
		.amdhsa_reserve_flat_scratch 0
		.amdhsa_float_round_mode_32 0
		.amdhsa_float_round_mode_16_64 0
		.amdhsa_float_denorm_mode_32 3
		.amdhsa_float_denorm_mode_16_64 3
		.amdhsa_dx10_clamp 1
		.amdhsa_ieee_mode 1
		.amdhsa_fp16_overflow 0
		.amdhsa_exception_fp_ieee_invalid_op 0
		.amdhsa_exception_fp_denorm_src 0
		.amdhsa_exception_fp_ieee_div_zero 0
		.amdhsa_exception_fp_ieee_overflow 0
		.amdhsa_exception_fp_ieee_underflow 0
		.amdhsa_exception_fp_ieee_inexact 0
		.amdhsa_exception_int_div_zero 0
	.end_amdhsa_kernel
	.section	.text._ZN2at6native12_GLOBAL__N_131cdist_backward_kernel_cuda_implIfNS1_5distsIfE3infEEEvPT_PKS6_S9_S9_S9_S6_lllllll,"axG",@progbits,_ZN2at6native12_GLOBAL__N_131cdist_backward_kernel_cuda_implIfNS1_5distsIfE3infEEEvPT_PKS6_S9_S9_S9_S6_lllllll,comdat
.Lfunc_end39:
	.size	_ZN2at6native12_GLOBAL__N_131cdist_backward_kernel_cuda_implIfNS1_5distsIfE3infEEEvPT_PKS6_S9_S9_S9_S6_lllllll, .Lfunc_end39-_ZN2at6native12_GLOBAL__N_131cdist_backward_kernel_cuda_implIfNS1_5distsIfE3infEEEvPT_PKS6_S9_S9_S9_S6_lllllll
                                        ; -- End function
	.set _ZN2at6native12_GLOBAL__N_131cdist_backward_kernel_cuda_implIfNS1_5distsIfE3infEEEvPT_PKS6_S9_S9_S9_S6_lllllll.num_vgpr, 22
	.set _ZN2at6native12_GLOBAL__N_131cdist_backward_kernel_cuda_implIfNS1_5distsIfE3infEEEvPT_PKS6_S9_S9_S9_S6_lllllll.num_agpr, 0
	.set _ZN2at6native12_GLOBAL__N_131cdist_backward_kernel_cuda_implIfNS1_5distsIfE3infEEEvPT_PKS6_S9_S9_S9_S6_lllllll.numbered_sgpr, 44
	.set _ZN2at6native12_GLOBAL__N_131cdist_backward_kernel_cuda_implIfNS1_5distsIfE3infEEEvPT_PKS6_S9_S9_S9_S6_lllllll.num_named_barrier, 0
	.set _ZN2at6native12_GLOBAL__N_131cdist_backward_kernel_cuda_implIfNS1_5distsIfE3infEEEvPT_PKS6_S9_S9_S9_S6_lllllll.private_seg_size, 0
	.set _ZN2at6native12_GLOBAL__N_131cdist_backward_kernel_cuda_implIfNS1_5distsIfE3infEEEvPT_PKS6_S9_S9_S9_S6_lllllll.uses_vcc, 1
	.set _ZN2at6native12_GLOBAL__N_131cdist_backward_kernel_cuda_implIfNS1_5distsIfE3infEEEvPT_PKS6_S9_S9_S9_S6_lllllll.uses_flat_scratch, 0
	.set _ZN2at6native12_GLOBAL__N_131cdist_backward_kernel_cuda_implIfNS1_5distsIfE3infEEEvPT_PKS6_S9_S9_S9_S6_lllllll.has_dyn_sized_stack, 0
	.set _ZN2at6native12_GLOBAL__N_131cdist_backward_kernel_cuda_implIfNS1_5distsIfE3infEEEvPT_PKS6_S9_S9_S9_S6_lllllll.has_recursion, 0
	.set _ZN2at6native12_GLOBAL__N_131cdist_backward_kernel_cuda_implIfNS1_5distsIfE3infEEEvPT_PKS6_S9_S9_S9_S6_lllllll.has_indirect_call, 0
	.section	.AMDGPU.csdata,"",@progbits
; Kernel info:
; codeLenInByte = 2296
; TotalNumSgprs: 48
; NumVgprs: 22
; ScratchSize: 0
; MemoryBound: 0
; FloatMode: 240
; IeeeMode: 1
; LDSByteSize: 0 bytes/workgroup (compile time only)
; SGPRBlocks: 5
; VGPRBlocks: 5
; NumSGPRsForWavesPerEU: 48
; NumVGPRsForWavesPerEU: 22
; Occupancy: 10
; WaveLimiterHint : 0
; COMPUTE_PGM_RSRC2:SCRATCH_EN: 0
; COMPUTE_PGM_RSRC2:USER_SGPR: 6
; COMPUTE_PGM_RSRC2:TRAP_HANDLER: 0
; COMPUTE_PGM_RSRC2:TGID_X_EN: 1
; COMPUTE_PGM_RSRC2:TGID_Y_EN: 1
; COMPUTE_PGM_RSRC2:TGID_Z_EN: 1
; COMPUTE_PGM_RSRC2:TIDIG_COMP_CNT: 1
	.section	.AMDGPU.gpr_maximums,"",@progbits
	.set amdgpu.max_num_vgpr, 0
	.set amdgpu.max_num_agpr, 0
	.set amdgpu.max_num_sgpr, 0
	.section	.AMDGPU.csdata,"",@progbits
	.type	__hip_cuid_4ba2f2eacd094521,@object ; @__hip_cuid_4ba2f2eacd094521
	.section	.bss,"aw",@nobits
	.globl	__hip_cuid_4ba2f2eacd094521
__hip_cuid_4ba2f2eacd094521:
	.byte	0                               ; 0x0
	.size	__hip_cuid_4ba2f2eacd094521, 1

	.ident	"AMD clang version 22.0.0git (https://github.com/RadeonOpenCompute/llvm-project roc-7.2.4 26084 f58b06dce1f9c15707c5f808fd002e18c2accf7e)"
	.section	".note.GNU-stack","",@progbits
	.addrsig
	.addrsig_sym __hip_cuid_4ba2f2eacd094521
	.amdgpu_metadata
---
amdhsa.kernels:
  - .args:
      - .address_space:  global
        .offset:         0
        .size:           8
        .value_kind:     global_buffer
      - .address_space:  global
        .offset:         8
        .size:           8
        .value_kind:     global_buffer
      - .address_space:  global
        .offset:         16
        .size:           8
        .value_kind:     global_buffer
      - .offset:         24
        .size:           8
        .value_kind:     by_value
      - .offset:         32
        .size:           8
        .value_kind:     by_value
      - .offset:         40
        .size:           8
        .value_kind:     by_value
      - .offset:         48
        .size:           8
        .value_kind:     by_value
      - .offset:         56
        .size:           8
        .value_kind:     by_value
      - .offset:         64
        .size:           8
        .value_kind:     by_value
      - .offset:         72
        .size:           4
        .value_kind:     hidden_block_count_x
      - .offset:         76
        .size:           4
        .value_kind:     hidden_block_count_y
      - .offset:         80
        .size:           4
        .value_kind:     hidden_block_count_z
      - .offset:         84
        .size:           2
        .value_kind:     hidden_group_size_x
      - .offset:         86
        .size:           2
        .value_kind:     hidden_group_size_y
      - .offset:         88
        .size:           2
        .value_kind:     hidden_group_size_z
      - .offset:         90
        .size:           2
        .value_kind:     hidden_remainder_x
      - .offset:         92
        .size:           2
        .value_kind:     hidden_remainder_y
      - .offset:         94
        .size:           2
        .value_kind:     hidden_remainder_z
      - .offset:         112
        .size:           8
        .value_kind:     hidden_global_offset_x
      - .offset:         120
        .size:           8
        .value_kind:     hidden_global_offset_y
      - .offset:         128
        .size:           8
        .value_kind:     hidden_global_offset_z
      - .offset:         136
        .size:           2
        .value_kind:     hidden_grid_dims
    .group_segment_fixed_size: 2048
    .kernarg_segment_align: 8
    .kernarg_segment_size: 328
    .language:       OpenCL C
    .language_version:
      - 2
      - 0
    .max_flat_workgroup_size: 1024
    .name:           _ZN2at6native12_GLOBAL__N_122cdist_kernel_cuda_implIdNS1_5distsIdE1pEEEvPT_PKS6_S9_S6_lllll
    .private_segment_fixed_size: 0
    .sgpr_count:     92
    .sgpr_spill_count: 0
    .symbol:         _ZN2at6native12_GLOBAL__N_122cdist_kernel_cuda_implIdNS1_5distsIdE1pEEEvPT_PKS6_S9_S6_lllll.kd
    .uniform_work_group_size: 1
    .uses_dynamic_stack: false
    .vgpr_count:     45
    .vgpr_spill_count: 0
    .wavefront_size: 64
  - .args:
      - .address_space:  global
        .offset:         0
        .size:           8
        .value_kind:     global_buffer
      - .address_space:  global
        .offset:         8
        .size:           8
        .value_kind:     global_buffer
      - .address_space:  global
        .offset:         16
        .size:           8
        .value_kind:     global_buffer
      - .offset:         24
        .size:           8
        .value_kind:     by_value
      - .offset:         32
        .size:           8
        .value_kind:     by_value
      - .offset:         40
        .size:           8
        .value_kind:     by_value
      - .offset:         48
        .size:           8
        .value_kind:     by_value
      - .offset:         56
        .size:           8
        .value_kind:     by_value
      - .offset:         64
        .size:           8
        .value_kind:     by_value
      - .offset:         72
        .size:           4
        .value_kind:     hidden_block_count_x
      - .offset:         76
        .size:           4
        .value_kind:     hidden_block_count_y
      - .offset:         80
        .size:           4
        .value_kind:     hidden_block_count_z
      - .offset:         84
        .size:           2
        .value_kind:     hidden_group_size_x
      - .offset:         86
        .size:           2
        .value_kind:     hidden_group_size_y
      - .offset:         88
        .size:           2
        .value_kind:     hidden_group_size_z
      - .offset:         90
        .size:           2
        .value_kind:     hidden_remainder_x
      - .offset:         92
        .size:           2
        .value_kind:     hidden_remainder_y
      - .offset:         94
        .size:           2
        .value_kind:     hidden_remainder_z
      - .offset:         112
        .size:           8
        .value_kind:     hidden_global_offset_x
      - .offset:         120
        .size:           8
        .value_kind:     hidden_global_offset_y
      - .offset:         128
        .size:           8
        .value_kind:     hidden_global_offset_z
      - .offset:         136
        .size:           2
        .value_kind:     hidden_grid_dims
    .group_segment_fixed_size: 2048
    .kernarg_segment_align: 8
    .kernarg_segment_size: 328
    .language:       OpenCL C
    .language_version:
      - 2
      - 0
    .max_flat_workgroup_size: 1024
    .name:           _ZN2at6native12_GLOBAL__N_122cdist_kernel_cuda_implIdNS1_5distsIdE4zeroEEEvPT_PKS6_S9_S6_lllll
    .private_segment_fixed_size: 0
    .sgpr_count:     41
    .sgpr_spill_count: 0
    .symbol:         _ZN2at6native12_GLOBAL__N_122cdist_kernel_cuda_implIdNS1_5distsIdE4zeroEEEvPT_PKS6_S9_S6_lllll.kd
    .uniform_work_group_size: 1
    .uses_dynamic_stack: false
    .vgpr_count:     17
    .vgpr_spill_count: 0
    .wavefront_size: 64
  - .args:
      - .address_space:  global
        .offset:         0
        .size:           8
        .value_kind:     global_buffer
      - .address_space:  global
        .offset:         8
        .size:           8
        .value_kind:     global_buffer
      - .address_space:  global
        .offset:         16
        .size:           8
        .value_kind:     global_buffer
      - .offset:         24
        .size:           8
        .value_kind:     by_value
      - .offset:         32
        .size:           8
        .value_kind:     by_value
      - .offset:         40
        .size:           8
        .value_kind:     by_value
      - .offset:         48
        .size:           8
        .value_kind:     by_value
      - .offset:         56
        .size:           8
        .value_kind:     by_value
      - .offset:         64
        .size:           8
        .value_kind:     by_value
      - .offset:         72
        .size:           4
        .value_kind:     hidden_block_count_x
      - .offset:         76
        .size:           4
        .value_kind:     hidden_block_count_y
      - .offset:         80
        .size:           4
        .value_kind:     hidden_block_count_z
      - .offset:         84
        .size:           2
        .value_kind:     hidden_group_size_x
      - .offset:         86
        .size:           2
        .value_kind:     hidden_group_size_y
      - .offset:         88
        .size:           2
        .value_kind:     hidden_group_size_z
      - .offset:         90
        .size:           2
        .value_kind:     hidden_remainder_x
      - .offset:         92
        .size:           2
        .value_kind:     hidden_remainder_y
      - .offset:         94
        .size:           2
        .value_kind:     hidden_remainder_z
      - .offset:         112
        .size:           8
        .value_kind:     hidden_global_offset_x
      - .offset:         120
        .size:           8
        .value_kind:     hidden_global_offset_y
      - .offset:         128
        .size:           8
        .value_kind:     hidden_global_offset_z
      - .offset:         136
        .size:           2
        .value_kind:     hidden_grid_dims
    .group_segment_fixed_size: 2048
    .kernarg_segment_align: 8
    .kernarg_segment_size: 328
    .language:       OpenCL C
    .language_version:
      - 2
      - 0
    .max_flat_workgroup_size: 1024
    .name:           _ZN2at6native12_GLOBAL__N_122cdist_kernel_cuda_implIdNS1_5distsIdE3oneEEEvPT_PKS6_S9_S6_lllll
    .private_segment_fixed_size: 0
    .sgpr_count:     41
    .sgpr_spill_count: 0
    .symbol:         _ZN2at6native12_GLOBAL__N_122cdist_kernel_cuda_implIdNS1_5distsIdE3oneEEEvPT_PKS6_S9_S6_lllll.kd
    .uniform_work_group_size: 1
    .uses_dynamic_stack: false
    .vgpr_count:     17
    .vgpr_spill_count: 0
    .wavefront_size: 64
  - .args:
      - .address_space:  global
        .offset:         0
        .size:           8
        .value_kind:     global_buffer
      - .address_space:  global
        .offset:         8
        .size:           8
        .value_kind:     global_buffer
      - .address_space:  global
        .offset:         16
        .size:           8
        .value_kind:     global_buffer
      - .offset:         24
        .size:           8
        .value_kind:     by_value
      - .offset:         32
        .size:           8
        .value_kind:     by_value
      - .offset:         40
        .size:           8
        .value_kind:     by_value
      - .offset:         48
        .size:           8
        .value_kind:     by_value
      - .offset:         56
        .size:           8
        .value_kind:     by_value
      - .offset:         64
        .size:           8
        .value_kind:     by_value
      - .offset:         72
        .size:           4
        .value_kind:     hidden_block_count_x
      - .offset:         76
        .size:           4
        .value_kind:     hidden_block_count_y
      - .offset:         80
        .size:           4
        .value_kind:     hidden_block_count_z
      - .offset:         84
        .size:           2
        .value_kind:     hidden_group_size_x
      - .offset:         86
        .size:           2
        .value_kind:     hidden_group_size_y
      - .offset:         88
        .size:           2
        .value_kind:     hidden_group_size_z
      - .offset:         90
        .size:           2
        .value_kind:     hidden_remainder_x
      - .offset:         92
        .size:           2
        .value_kind:     hidden_remainder_y
      - .offset:         94
        .size:           2
        .value_kind:     hidden_remainder_z
      - .offset:         112
        .size:           8
        .value_kind:     hidden_global_offset_x
      - .offset:         120
        .size:           8
        .value_kind:     hidden_global_offset_y
      - .offset:         128
        .size:           8
        .value_kind:     hidden_global_offset_z
      - .offset:         136
        .size:           2
        .value_kind:     hidden_grid_dims
    .group_segment_fixed_size: 2048
    .kernarg_segment_align: 8
    .kernarg_segment_size: 328
    .language:       OpenCL C
    .language_version:
      - 2
      - 0
    .max_flat_workgroup_size: 1024
    .name:           _ZN2at6native12_GLOBAL__N_122cdist_kernel_cuda_implIdNS1_5distsIdE3twoEEEvPT_PKS6_S9_S6_lllll
    .private_segment_fixed_size: 0
    .sgpr_count:     41
    .sgpr_spill_count: 0
    .symbol:         _ZN2at6native12_GLOBAL__N_122cdist_kernel_cuda_implIdNS1_5distsIdE3twoEEEvPT_PKS6_S9_S6_lllll.kd
    .uniform_work_group_size: 1
    .uses_dynamic_stack: false
    .vgpr_count:     17
    .vgpr_spill_count: 0
    .wavefront_size: 64
  - .args:
      - .address_space:  global
        .offset:         0
        .size:           8
        .value_kind:     global_buffer
      - .address_space:  global
        .offset:         8
        .size:           8
        .value_kind:     global_buffer
      - .address_space:  global
        .offset:         16
        .size:           8
        .value_kind:     global_buffer
      - .offset:         24
        .size:           8
        .value_kind:     by_value
      - .offset:         32
        .size:           8
        .value_kind:     by_value
      - .offset:         40
        .size:           8
        .value_kind:     by_value
      - .offset:         48
        .size:           8
        .value_kind:     by_value
      - .offset:         56
        .size:           8
        .value_kind:     by_value
      - .offset:         64
        .size:           8
        .value_kind:     by_value
      - .offset:         72
        .size:           4
        .value_kind:     hidden_block_count_x
      - .offset:         76
        .size:           4
        .value_kind:     hidden_block_count_y
      - .offset:         80
        .size:           4
        .value_kind:     hidden_block_count_z
      - .offset:         84
        .size:           2
        .value_kind:     hidden_group_size_x
      - .offset:         86
        .size:           2
        .value_kind:     hidden_group_size_y
      - .offset:         88
        .size:           2
        .value_kind:     hidden_group_size_z
      - .offset:         90
        .size:           2
        .value_kind:     hidden_remainder_x
      - .offset:         92
        .size:           2
        .value_kind:     hidden_remainder_y
      - .offset:         94
        .size:           2
        .value_kind:     hidden_remainder_z
      - .offset:         112
        .size:           8
        .value_kind:     hidden_global_offset_x
      - .offset:         120
        .size:           8
        .value_kind:     hidden_global_offset_y
      - .offset:         128
        .size:           8
        .value_kind:     hidden_global_offset_z
      - .offset:         136
        .size:           2
        .value_kind:     hidden_grid_dims
    .group_segment_fixed_size: 2048
    .kernarg_segment_align: 8
    .kernarg_segment_size: 328
    .language:       OpenCL C
    .language_version:
      - 2
      - 0
    .max_flat_workgroup_size: 1024
    .name:           _ZN2at6native12_GLOBAL__N_122cdist_kernel_cuda_implIdNS1_5distsIdE3infEEEvPT_PKS6_S9_S6_lllll
    .private_segment_fixed_size: 0
    .sgpr_count:     41
    .sgpr_spill_count: 0
    .symbol:         _ZN2at6native12_GLOBAL__N_122cdist_kernel_cuda_implIdNS1_5distsIdE3infEEEvPT_PKS6_S9_S6_lllll.kd
    .uniform_work_group_size: 1
    .uses_dynamic_stack: false
    .vgpr_count:     17
    .vgpr_spill_count: 0
    .wavefront_size: 64
  - .args:
      - .address_space:  global
        .offset:         0
        .size:           8
        .value_kind:     global_buffer
      - .address_space:  global
        .offset:         8
        .size:           8
        .value_kind:     global_buffer
      - .address_space:  global
        .offset:         16
        .size:           8
        .value_kind:     global_buffer
      - .offset:         24
        .size:           4
        .value_kind:     by_value
      - .offset:         32
        .size:           8
        .value_kind:     by_value
      - .offset:         40
        .size:           8
        .value_kind:     by_value
      - .offset:         48
        .size:           8
        .value_kind:     by_value
      - .offset:         56
        .size:           8
        .value_kind:     by_value
      - .offset:         64
        .size:           8
        .value_kind:     by_value
      - .offset:         72
        .size:           4
        .value_kind:     hidden_block_count_x
      - .offset:         76
        .size:           4
        .value_kind:     hidden_block_count_y
      - .offset:         80
        .size:           4
        .value_kind:     hidden_block_count_z
      - .offset:         84
        .size:           2
        .value_kind:     hidden_group_size_x
      - .offset:         86
        .size:           2
        .value_kind:     hidden_group_size_y
      - .offset:         88
        .size:           2
        .value_kind:     hidden_group_size_z
      - .offset:         90
        .size:           2
        .value_kind:     hidden_remainder_x
      - .offset:         92
        .size:           2
        .value_kind:     hidden_remainder_y
      - .offset:         94
        .size:           2
        .value_kind:     hidden_remainder_z
      - .offset:         112
        .size:           8
        .value_kind:     hidden_global_offset_x
      - .offset:         120
        .size:           8
        .value_kind:     hidden_global_offset_y
      - .offset:         128
        .size:           8
        .value_kind:     hidden_global_offset_z
      - .offset:         136
        .size:           2
        .value_kind:     hidden_grid_dims
    .group_segment_fixed_size: 1024
    .kernarg_segment_align: 8
    .kernarg_segment_size: 328
    .language:       OpenCL C
    .language_version:
      - 2
      - 0
    .max_flat_workgroup_size: 1024
    .name:           _ZN2at6native12_GLOBAL__N_122cdist_kernel_cuda_implIfNS1_5distsIfE1pEEEvPT_PKS6_S9_S6_lllll
    .private_segment_fixed_size: 0
    .sgpr_count:     41
    .sgpr_spill_count: 0
    .symbol:         _ZN2at6native12_GLOBAL__N_122cdist_kernel_cuda_implIfNS1_5distsIfE1pEEEvPT_PKS6_S9_S6_lllll.kd
    .uniform_work_group_size: 1
    .uses_dynamic_stack: false
    .vgpr_count:     24
    .vgpr_spill_count: 0
    .wavefront_size: 64
  - .args:
      - .address_space:  global
        .offset:         0
        .size:           8
        .value_kind:     global_buffer
      - .address_space:  global
        .offset:         8
        .size:           8
        .value_kind:     global_buffer
      - .address_space:  global
        .offset:         16
        .size:           8
        .value_kind:     global_buffer
      - .offset:         24
        .size:           4
        .value_kind:     by_value
      - .offset:         32
        .size:           8
        .value_kind:     by_value
      - .offset:         40
        .size:           8
        .value_kind:     by_value
      - .offset:         48
        .size:           8
        .value_kind:     by_value
      - .offset:         56
        .size:           8
        .value_kind:     by_value
      - .offset:         64
        .size:           8
        .value_kind:     by_value
      - .offset:         72
        .size:           4
        .value_kind:     hidden_block_count_x
      - .offset:         76
        .size:           4
        .value_kind:     hidden_block_count_y
      - .offset:         80
        .size:           4
        .value_kind:     hidden_block_count_z
      - .offset:         84
        .size:           2
        .value_kind:     hidden_group_size_x
      - .offset:         86
        .size:           2
        .value_kind:     hidden_group_size_y
      - .offset:         88
        .size:           2
        .value_kind:     hidden_group_size_z
      - .offset:         90
        .size:           2
        .value_kind:     hidden_remainder_x
      - .offset:         92
        .size:           2
        .value_kind:     hidden_remainder_y
      - .offset:         94
        .size:           2
        .value_kind:     hidden_remainder_z
      - .offset:         112
        .size:           8
        .value_kind:     hidden_global_offset_x
      - .offset:         120
        .size:           8
        .value_kind:     hidden_global_offset_y
      - .offset:         128
        .size:           8
        .value_kind:     hidden_global_offset_z
      - .offset:         136
        .size:           2
        .value_kind:     hidden_grid_dims
    .group_segment_fixed_size: 1024
    .kernarg_segment_align: 8
    .kernarg_segment_size: 328
    .language:       OpenCL C
    .language_version:
      - 2
      - 0
    .max_flat_workgroup_size: 1024
    .name:           _ZN2at6native12_GLOBAL__N_122cdist_kernel_cuda_implIfNS1_5distsIfE4zeroEEEvPT_PKS6_S9_S6_lllll
    .private_segment_fixed_size: 0
    .sgpr_count:     41
    .sgpr_spill_count: 0
    .symbol:         _ZN2at6native12_GLOBAL__N_122cdist_kernel_cuda_implIfNS1_5distsIfE4zeroEEEvPT_PKS6_S9_S6_lllll.kd
    .uniform_work_group_size: 1
    .uses_dynamic_stack: false
    .vgpr_count:     14
    .vgpr_spill_count: 0
    .wavefront_size: 64
  - .args:
      - .address_space:  global
        .offset:         0
        .size:           8
        .value_kind:     global_buffer
      - .address_space:  global
        .offset:         8
        .size:           8
        .value_kind:     global_buffer
      - .address_space:  global
        .offset:         16
        .size:           8
        .value_kind:     global_buffer
      - .offset:         24
        .size:           4
        .value_kind:     by_value
      - .offset:         32
        .size:           8
        .value_kind:     by_value
      - .offset:         40
        .size:           8
        .value_kind:     by_value
      - .offset:         48
        .size:           8
        .value_kind:     by_value
      - .offset:         56
        .size:           8
        .value_kind:     by_value
      - .offset:         64
        .size:           8
        .value_kind:     by_value
      - .offset:         72
        .size:           4
        .value_kind:     hidden_block_count_x
      - .offset:         76
        .size:           4
        .value_kind:     hidden_block_count_y
      - .offset:         80
        .size:           4
        .value_kind:     hidden_block_count_z
      - .offset:         84
        .size:           2
        .value_kind:     hidden_group_size_x
      - .offset:         86
        .size:           2
        .value_kind:     hidden_group_size_y
      - .offset:         88
        .size:           2
        .value_kind:     hidden_group_size_z
      - .offset:         90
        .size:           2
        .value_kind:     hidden_remainder_x
      - .offset:         92
        .size:           2
        .value_kind:     hidden_remainder_y
      - .offset:         94
        .size:           2
        .value_kind:     hidden_remainder_z
      - .offset:         112
        .size:           8
        .value_kind:     hidden_global_offset_x
      - .offset:         120
        .size:           8
        .value_kind:     hidden_global_offset_y
      - .offset:         128
        .size:           8
        .value_kind:     hidden_global_offset_z
      - .offset:         136
        .size:           2
        .value_kind:     hidden_grid_dims
    .group_segment_fixed_size: 1024
    .kernarg_segment_align: 8
    .kernarg_segment_size: 328
    .language:       OpenCL C
    .language_version:
      - 2
      - 0
    .max_flat_workgroup_size: 1024
    .name:           _ZN2at6native12_GLOBAL__N_122cdist_kernel_cuda_implIfNS1_5distsIfE3oneEEEvPT_PKS6_S9_S6_lllll
    .private_segment_fixed_size: 0
    .sgpr_count:     41
    .sgpr_spill_count: 0
    .symbol:         _ZN2at6native12_GLOBAL__N_122cdist_kernel_cuda_implIfNS1_5distsIfE3oneEEEvPT_PKS6_S9_S6_lllll.kd
    .uniform_work_group_size: 1
    .uses_dynamic_stack: false
    .vgpr_count:     14
    .vgpr_spill_count: 0
    .wavefront_size: 64
  - .args:
      - .address_space:  global
        .offset:         0
        .size:           8
        .value_kind:     global_buffer
      - .address_space:  global
        .offset:         8
        .size:           8
        .value_kind:     global_buffer
      - .address_space:  global
        .offset:         16
        .size:           8
        .value_kind:     global_buffer
      - .offset:         24
        .size:           4
        .value_kind:     by_value
      - .offset:         32
        .size:           8
        .value_kind:     by_value
      - .offset:         40
        .size:           8
        .value_kind:     by_value
      - .offset:         48
        .size:           8
        .value_kind:     by_value
      - .offset:         56
        .size:           8
        .value_kind:     by_value
      - .offset:         64
        .size:           8
        .value_kind:     by_value
      - .offset:         72
        .size:           4
        .value_kind:     hidden_block_count_x
      - .offset:         76
        .size:           4
        .value_kind:     hidden_block_count_y
      - .offset:         80
        .size:           4
        .value_kind:     hidden_block_count_z
      - .offset:         84
        .size:           2
        .value_kind:     hidden_group_size_x
      - .offset:         86
        .size:           2
        .value_kind:     hidden_group_size_y
      - .offset:         88
        .size:           2
        .value_kind:     hidden_group_size_z
      - .offset:         90
        .size:           2
        .value_kind:     hidden_remainder_x
      - .offset:         92
        .size:           2
        .value_kind:     hidden_remainder_y
      - .offset:         94
        .size:           2
        .value_kind:     hidden_remainder_z
      - .offset:         112
        .size:           8
        .value_kind:     hidden_global_offset_x
      - .offset:         120
        .size:           8
        .value_kind:     hidden_global_offset_y
      - .offset:         128
        .size:           8
        .value_kind:     hidden_global_offset_z
      - .offset:         136
        .size:           2
        .value_kind:     hidden_grid_dims
    .group_segment_fixed_size: 1024
    .kernarg_segment_align: 8
    .kernarg_segment_size: 328
    .language:       OpenCL C
    .language_version:
      - 2
      - 0
    .max_flat_workgroup_size: 1024
    .name:           _ZN2at6native12_GLOBAL__N_122cdist_kernel_cuda_implIfNS1_5distsIfE3twoEEEvPT_PKS6_S9_S6_lllll
    .private_segment_fixed_size: 0
    .sgpr_count:     41
    .sgpr_spill_count: 0
    .symbol:         _ZN2at6native12_GLOBAL__N_122cdist_kernel_cuda_implIfNS1_5distsIfE3twoEEEvPT_PKS6_S9_S6_lllll.kd
    .uniform_work_group_size: 1
    .uses_dynamic_stack: false
    .vgpr_count:     14
    .vgpr_spill_count: 0
    .wavefront_size: 64
  - .args:
      - .address_space:  global
        .offset:         0
        .size:           8
        .value_kind:     global_buffer
      - .address_space:  global
        .offset:         8
        .size:           8
        .value_kind:     global_buffer
      - .address_space:  global
        .offset:         16
        .size:           8
        .value_kind:     global_buffer
      - .offset:         24
        .size:           4
        .value_kind:     by_value
      - .offset:         32
        .size:           8
        .value_kind:     by_value
      - .offset:         40
        .size:           8
        .value_kind:     by_value
      - .offset:         48
        .size:           8
        .value_kind:     by_value
      - .offset:         56
        .size:           8
        .value_kind:     by_value
      - .offset:         64
        .size:           8
        .value_kind:     by_value
      - .offset:         72
        .size:           4
        .value_kind:     hidden_block_count_x
      - .offset:         76
        .size:           4
        .value_kind:     hidden_block_count_y
      - .offset:         80
        .size:           4
        .value_kind:     hidden_block_count_z
      - .offset:         84
        .size:           2
        .value_kind:     hidden_group_size_x
      - .offset:         86
        .size:           2
        .value_kind:     hidden_group_size_y
      - .offset:         88
        .size:           2
        .value_kind:     hidden_group_size_z
      - .offset:         90
        .size:           2
        .value_kind:     hidden_remainder_x
      - .offset:         92
        .size:           2
        .value_kind:     hidden_remainder_y
      - .offset:         94
        .size:           2
        .value_kind:     hidden_remainder_z
      - .offset:         112
        .size:           8
        .value_kind:     hidden_global_offset_x
      - .offset:         120
        .size:           8
        .value_kind:     hidden_global_offset_y
      - .offset:         128
        .size:           8
        .value_kind:     hidden_global_offset_z
      - .offset:         136
        .size:           2
        .value_kind:     hidden_grid_dims
    .group_segment_fixed_size: 1024
    .kernarg_segment_align: 8
    .kernarg_segment_size: 328
    .language:       OpenCL C
    .language_version:
      - 2
      - 0
    .max_flat_workgroup_size: 1024
    .name:           _ZN2at6native12_GLOBAL__N_122cdist_kernel_cuda_implIfNS1_5distsIfE3infEEEvPT_PKS6_S9_S6_lllll
    .private_segment_fixed_size: 0
    .sgpr_count:     41
    .sgpr_spill_count: 0
    .symbol:         _ZN2at6native12_GLOBAL__N_122cdist_kernel_cuda_implIfNS1_5distsIfE3infEEEvPT_PKS6_S9_S6_lllll.kd
    .uniform_work_group_size: 1
    .uses_dynamic_stack: false
    .vgpr_count:     14
    .vgpr_spill_count: 0
    .wavefront_size: 64
  - .args:
      - .address_space:  global
        .offset:         0
        .size:           8
        .value_kind:     global_buffer
      - .address_space:  global
        .offset:         8
        .size:           8
        .value_kind:     global_buffer
      - .offset:         16
        .size:           8
        .value_kind:     by_value
      - .offset:         24
        .size:           8
        .value_kind:     by_value
      - .offset:         32
        .size:           8
        .value_kind:     by_value
      - .offset:         40
        .size:           8
        .value_kind:     by_value
      - .offset:         48
        .size:           8
        .value_kind:     by_value
      - .offset:         56
        .size:           4
        .value_kind:     hidden_block_count_x
      - .offset:         60
        .size:           4
        .value_kind:     hidden_block_count_y
      - .offset:         64
        .size:           4
        .value_kind:     hidden_block_count_z
      - .offset:         68
        .size:           2
        .value_kind:     hidden_group_size_x
      - .offset:         70
        .size:           2
        .value_kind:     hidden_group_size_y
      - .offset:         72
        .size:           2
        .value_kind:     hidden_group_size_z
      - .offset:         74
        .size:           2
        .value_kind:     hidden_remainder_x
      - .offset:         76
        .size:           2
        .value_kind:     hidden_remainder_y
      - .offset:         78
        .size:           2
        .value_kind:     hidden_remainder_z
      - .offset:         96
        .size:           8
        .value_kind:     hidden_global_offset_x
      - .offset:         104
        .size:           8
        .value_kind:     hidden_global_offset_y
      - .offset:         112
        .size:           8
        .value_kind:     hidden_global_offset_z
      - .offset:         120
        .size:           2
        .value_kind:     hidden_grid_dims
    .group_segment_fixed_size: 2048
    .kernarg_segment_align: 8
    .kernarg_segment_size: 312
    .language:       OpenCL C
    .language_version:
      - 2
      - 0
    .max_flat_workgroup_size: 1024
    .name:           _ZN2at6native12_GLOBAL__N_122pdist_kernel_cuda_implIdNS1_5distsIdE1pEEEvPT_PKS6_llS6_dd
    .private_segment_fixed_size: 0
    .sgpr_count:     90
    .sgpr_spill_count: 0
    .symbol:         _ZN2at6native12_GLOBAL__N_122pdist_kernel_cuda_implIdNS1_5distsIdE1pEEEvPT_PKS6_llS6_dd.kd
    .uniform_work_group_size: 1
    .uses_dynamic_stack: false
    .vgpr_count:     45
    .vgpr_spill_count: 0
    .wavefront_size: 64
  - .args:
      - .address_space:  global
        .offset:         0
        .size:           8
        .value_kind:     global_buffer
      - .address_space:  global
        .offset:         8
        .size:           8
        .value_kind:     global_buffer
      - .offset:         16
        .size:           8
        .value_kind:     by_value
      - .offset:         24
        .size:           8
        .value_kind:     by_value
      - .offset:         32
        .size:           8
        .value_kind:     by_value
      - .offset:         40
        .size:           8
        .value_kind:     by_value
      - .offset:         48
        .size:           8
        .value_kind:     by_value
      - .offset:         56
        .size:           4
        .value_kind:     hidden_block_count_x
      - .offset:         60
        .size:           4
        .value_kind:     hidden_block_count_y
      - .offset:         64
        .size:           4
        .value_kind:     hidden_block_count_z
      - .offset:         68
        .size:           2
        .value_kind:     hidden_group_size_x
      - .offset:         70
        .size:           2
        .value_kind:     hidden_group_size_y
      - .offset:         72
        .size:           2
        .value_kind:     hidden_group_size_z
      - .offset:         74
        .size:           2
        .value_kind:     hidden_remainder_x
      - .offset:         76
        .size:           2
        .value_kind:     hidden_remainder_y
      - .offset:         78
        .size:           2
        .value_kind:     hidden_remainder_z
      - .offset:         96
        .size:           8
        .value_kind:     hidden_global_offset_x
      - .offset:         104
        .size:           8
        .value_kind:     hidden_global_offset_y
      - .offset:         112
        .size:           8
        .value_kind:     hidden_global_offset_z
      - .offset:         120
        .size:           2
        .value_kind:     hidden_grid_dims
    .group_segment_fixed_size: 2048
    .kernarg_segment_align: 8
    .kernarg_segment_size: 312
    .language:       OpenCL C
    .language_version:
      - 2
      - 0
    .max_flat_workgroup_size: 1024
    .name:           _ZN2at6native12_GLOBAL__N_122pdist_kernel_cuda_implIdNS1_5distsIdE4zeroEEEvPT_PKS6_llS6_dd
    .private_segment_fixed_size: 0
    .sgpr_count:     28
    .sgpr_spill_count: 0
    .symbol:         _ZN2at6native12_GLOBAL__N_122pdist_kernel_cuda_implIdNS1_5distsIdE4zeroEEEvPT_PKS6_llS6_dd.kd
    .uniform_work_group_size: 1
    .uses_dynamic_stack: false
    .vgpr_count:     19
    .vgpr_spill_count: 0
    .wavefront_size: 64
  - .args:
      - .address_space:  global
        .offset:         0
        .size:           8
        .value_kind:     global_buffer
      - .address_space:  global
        .offset:         8
        .size:           8
        .value_kind:     global_buffer
      - .offset:         16
        .size:           8
        .value_kind:     by_value
      - .offset:         24
        .size:           8
        .value_kind:     by_value
      - .offset:         32
        .size:           8
        .value_kind:     by_value
      - .offset:         40
        .size:           8
        .value_kind:     by_value
      - .offset:         48
        .size:           8
        .value_kind:     by_value
      - .offset:         56
        .size:           4
        .value_kind:     hidden_block_count_x
      - .offset:         60
        .size:           4
        .value_kind:     hidden_block_count_y
      - .offset:         64
        .size:           4
        .value_kind:     hidden_block_count_z
      - .offset:         68
        .size:           2
        .value_kind:     hidden_group_size_x
      - .offset:         70
        .size:           2
        .value_kind:     hidden_group_size_y
      - .offset:         72
        .size:           2
        .value_kind:     hidden_group_size_z
      - .offset:         74
        .size:           2
        .value_kind:     hidden_remainder_x
      - .offset:         76
        .size:           2
        .value_kind:     hidden_remainder_y
      - .offset:         78
        .size:           2
        .value_kind:     hidden_remainder_z
      - .offset:         96
        .size:           8
        .value_kind:     hidden_global_offset_x
      - .offset:         104
        .size:           8
        .value_kind:     hidden_global_offset_y
      - .offset:         112
        .size:           8
        .value_kind:     hidden_global_offset_z
      - .offset:         120
        .size:           2
        .value_kind:     hidden_grid_dims
    .group_segment_fixed_size: 2048
    .kernarg_segment_align: 8
    .kernarg_segment_size: 312
    .language:       OpenCL C
    .language_version:
      - 2
      - 0
    .max_flat_workgroup_size: 1024
    .name:           _ZN2at6native12_GLOBAL__N_122pdist_kernel_cuda_implIdNS1_5distsIdE3oneEEEvPT_PKS6_llS6_dd
    .private_segment_fixed_size: 0
    .sgpr_count:     28
    .sgpr_spill_count: 0
    .symbol:         _ZN2at6native12_GLOBAL__N_122pdist_kernel_cuda_implIdNS1_5distsIdE3oneEEEvPT_PKS6_llS6_dd.kd
    .uniform_work_group_size: 1
    .uses_dynamic_stack: false
    .vgpr_count:     19
    .vgpr_spill_count: 0
    .wavefront_size: 64
  - .args:
      - .address_space:  global
        .offset:         0
        .size:           8
        .value_kind:     global_buffer
      - .address_space:  global
        .offset:         8
        .size:           8
        .value_kind:     global_buffer
      - .offset:         16
        .size:           8
        .value_kind:     by_value
      - .offset:         24
        .size:           8
        .value_kind:     by_value
      - .offset:         32
        .size:           8
        .value_kind:     by_value
      - .offset:         40
        .size:           8
        .value_kind:     by_value
      - .offset:         48
        .size:           8
        .value_kind:     by_value
      - .offset:         56
        .size:           4
        .value_kind:     hidden_block_count_x
      - .offset:         60
        .size:           4
        .value_kind:     hidden_block_count_y
      - .offset:         64
        .size:           4
        .value_kind:     hidden_block_count_z
      - .offset:         68
        .size:           2
        .value_kind:     hidden_group_size_x
      - .offset:         70
        .size:           2
        .value_kind:     hidden_group_size_y
      - .offset:         72
        .size:           2
        .value_kind:     hidden_group_size_z
      - .offset:         74
        .size:           2
        .value_kind:     hidden_remainder_x
      - .offset:         76
        .size:           2
        .value_kind:     hidden_remainder_y
      - .offset:         78
        .size:           2
        .value_kind:     hidden_remainder_z
      - .offset:         96
        .size:           8
        .value_kind:     hidden_global_offset_x
      - .offset:         104
        .size:           8
        .value_kind:     hidden_global_offset_y
      - .offset:         112
        .size:           8
        .value_kind:     hidden_global_offset_z
      - .offset:         120
        .size:           2
        .value_kind:     hidden_grid_dims
    .group_segment_fixed_size: 2048
    .kernarg_segment_align: 8
    .kernarg_segment_size: 312
    .language:       OpenCL C
    .language_version:
      - 2
      - 0
    .max_flat_workgroup_size: 1024
    .name:           _ZN2at6native12_GLOBAL__N_122pdist_kernel_cuda_implIdNS1_5distsIdE3twoEEEvPT_PKS6_llS6_dd
    .private_segment_fixed_size: 0
    .sgpr_count:     28
    .sgpr_spill_count: 0
    .symbol:         _ZN2at6native12_GLOBAL__N_122pdist_kernel_cuda_implIdNS1_5distsIdE3twoEEEvPT_PKS6_llS6_dd.kd
    .uniform_work_group_size: 1
    .uses_dynamic_stack: false
    .vgpr_count:     19
    .vgpr_spill_count: 0
    .wavefront_size: 64
  - .args:
      - .address_space:  global
        .offset:         0
        .size:           8
        .value_kind:     global_buffer
      - .address_space:  global
        .offset:         8
        .size:           8
        .value_kind:     global_buffer
      - .offset:         16
        .size:           8
        .value_kind:     by_value
      - .offset:         24
        .size:           8
        .value_kind:     by_value
      - .offset:         32
        .size:           8
        .value_kind:     by_value
      - .offset:         40
        .size:           8
        .value_kind:     by_value
      - .offset:         48
        .size:           8
        .value_kind:     by_value
      - .offset:         56
        .size:           4
        .value_kind:     hidden_block_count_x
      - .offset:         60
        .size:           4
        .value_kind:     hidden_block_count_y
      - .offset:         64
        .size:           4
        .value_kind:     hidden_block_count_z
      - .offset:         68
        .size:           2
        .value_kind:     hidden_group_size_x
      - .offset:         70
        .size:           2
        .value_kind:     hidden_group_size_y
      - .offset:         72
        .size:           2
        .value_kind:     hidden_group_size_z
      - .offset:         74
        .size:           2
        .value_kind:     hidden_remainder_x
      - .offset:         76
        .size:           2
        .value_kind:     hidden_remainder_y
      - .offset:         78
        .size:           2
        .value_kind:     hidden_remainder_z
      - .offset:         96
        .size:           8
        .value_kind:     hidden_global_offset_x
      - .offset:         104
        .size:           8
        .value_kind:     hidden_global_offset_y
      - .offset:         112
        .size:           8
        .value_kind:     hidden_global_offset_z
      - .offset:         120
        .size:           2
        .value_kind:     hidden_grid_dims
    .group_segment_fixed_size: 2048
    .kernarg_segment_align: 8
    .kernarg_segment_size: 312
    .language:       OpenCL C
    .language_version:
      - 2
      - 0
    .max_flat_workgroup_size: 1024
    .name:           _ZN2at6native12_GLOBAL__N_122pdist_kernel_cuda_implIdNS1_5distsIdE3infEEEvPT_PKS6_llS6_dd
    .private_segment_fixed_size: 0
    .sgpr_count:     27
    .sgpr_spill_count: 0
    .symbol:         _ZN2at6native12_GLOBAL__N_122pdist_kernel_cuda_implIdNS1_5distsIdE3infEEEvPT_PKS6_llS6_dd.kd
    .uniform_work_group_size: 1
    .uses_dynamic_stack: false
    .vgpr_count:     19
    .vgpr_spill_count: 0
    .wavefront_size: 64
  - .args:
      - .address_space:  global
        .offset:         0
        .size:           8
        .value_kind:     global_buffer
      - .address_space:  global
        .offset:         8
        .size:           8
        .value_kind:     global_buffer
      - .offset:         16
        .size:           8
        .value_kind:     by_value
      - .offset:         24
        .size:           8
        .value_kind:     by_value
      - .offset:         32
        .size:           4
        .value_kind:     by_value
      - .offset:         40
        .size:           8
        .value_kind:     by_value
      - .offset:         48
        .size:           8
        .value_kind:     by_value
      - .offset:         56
        .size:           4
        .value_kind:     hidden_block_count_x
      - .offset:         60
        .size:           4
        .value_kind:     hidden_block_count_y
      - .offset:         64
        .size:           4
        .value_kind:     hidden_block_count_z
      - .offset:         68
        .size:           2
        .value_kind:     hidden_group_size_x
      - .offset:         70
        .size:           2
        .value_kind:     hidden_group_size_y
      - .offset:         72
        .size:           2
        .value_kind:     hidden_group_size_z
      - .offset:         74
        .size:           2
        .value_kind:     hidden_remainder_x
      - .offset:         76
        .size:           2
        .value_kind:     hidden_remainder_y
      - .offset:         78
        .size:           2
        .value_kind:     hidden_remainder_z
      - .offset:         96
        .size:           8
        .value_kind:     hidden_global_offset_x
      - .offset:         104
        .size:           8
        .value_kind:     hidden_global_offset_y
      - .offset:         112
        .size:           8
        .value_kind:     hidden_global_offset_z
      - .offset:         120
        .size:           2
        .value_kind:     hidden_grid_dims
    .group_segment_fixed_size: 1024
    .kernarg_segment_align: 8
    .kernarg_segment_size: 312
    .language:       OpenCL C
    .language_version:
      - 2
      - 0
    .max_flat_workgroup_size: 1024
    .name:           _ZN2at6native12_GLOBAL__N_122pdist_kernel_cuda_implIfNS1_5distsIfE1pEEEvPT_PKS6_llS6_dd
    .private_segment_fixed_size: 0
    .sgpr_count:     35
    .sgpr_spill_count: 0
    .symbol:         _ZN2at6native12_GLOBAL__N_122pdist_kernel_cuda_implIfNS1_5distsIfE1pEEEvPT_PKS6_llS6_dd.kd
    .uniform_work_group_size: 1
    .uses_dynamic_stack: false
    .vgpr_count:     23
    .vgpr_spill_count: 0
    .wavefront_size: 64
  - .args:
      - .address_space:  global
        .offset:         0
        .size:           8
        .value_kind:     global_buffer
      - .address_space:  global
        .offset:         8
        .size:           8
        .value_kind:     global_buffer
      - .offset:         16
        .size:           8
        .value_kind:     by_value
      - .offset:         24
        .size:           8
        .value_kind:     by_value
      - .offset:         32
        .size:           4
        .value_kind:     by_value
      - .offset:         40
        .size:           8
        .value_kind:     by_value
      - .offset:         48
        .size:           8
        .value_kind:     by_value
      - .offset:         56
        .size:           4
        .value_kind:     hidden_block_count_x
      - .offset:         60
        .size:           4
        .value_kind:     hidden_block_count_y
      - .offset:         64
        .size:           4
        .value_kind:     hidden_block_count_z
      - .offset:         68
        .size:           2
        .value_kind:     hidden_group_size_x
      - .offset:         70
        .size:           2
        .value_kind:     hidden_group_size_y
      - .offset:         72
        .size:           2
        .value_kind:     hidden_group_size_z
      - .offset:         74
        .size:           2
        .value_kind:     hidden_remainder_x
      - .offset:         76
        .size:           2
        .value_kind:     hidden_remainder_y
      - .offset:         78
        .size:           2
        .value_kind:     hidden_remainder_z
      - .offset:         96
        .size:           8
        .value_kind:     hidden_global_offset_x
      - .offset:         104
        .size:           8
        .value_kind:     hidden_global_offset_y
      - .offset:         112
        .size:           8
        .value_kind:     hidden_global_offset_z
      - .offset:         120
        .size:           2
        .value_kind:     hidden_grid_dims
    .group_segment_fixed_size: 1024
    .kernarg_segment_align: 8
    .kernarg_segment_size: 312
    .language:       OpenCL C
    .language_version:
      - 2
      - 0
    .max_flat_workgroup_size: 1024
    .name:           _ZN2at6native12_GLOBAL__N_122pdist_kernel_cuda_implIfNS1_5distsIfE4zeroEEEvPT_PKS6_llS6_dd
    .private_segment_fixed_size: 0
    .sgpr_count:     28
    .sgpr_spill_count: 0
    .symbol:         _ZN2at6native12_GLOBAL__N_122pdist_kernel_cuda_implIfNS1_5distsIfE4zeroEEEvPT_PKS6_llS6_dd.kd
    .uniform_work_group_size: 1
    .uses_dynamic_stack: false
    .vgpr_count:     16
    .vgpr_spill_count: 0
    .wavefront_size: 64
  - .args:
      - .address_space:  global
        .offset:         0
        .size:           8
        .value_kind:     global_buffer
      - .address_space:  global
        .offset:         8
        .size:           8
        .value_kind:     global_buffer
      - .offset:         16
        .size:           8
        .value_kind:     by_value
      - .offset:         24
        .size:           8
        .value_kind:     by_value
      - .offset:         32
        .size:           4
        .value_kind:     by_value
      - .offset:         40
        .size:           8
        .value_kind:     by_value
      - .offset:         48
        .size:           8
        .value_kind:     by_value
      - .offset:         56
        .size:           4
        .value_kind:     hidden_block_count_x
      - .offset:         60
        .size:           4
        .value_kind:     hidden_block_count_y
      - .offset:         64
        .size:           4
        .value_kind:     hidden_block_count_z
      - .offset:         68
        .size:           2
        .value_kind:     hidden_group_size_x
      - .offset:         70
        .size:           2
        .value_kind:     hidden_group_size_y
      - .offset:         72
        .size:           2
        .value_kind:     hidden_group_size_z
      - .offset:         74
        .size:           2
        .value_kind:     hidden_remainder_x
      - .offset:         76
        .size:           2
        .value_kind:     hidden_remainder_y
      - .offset:         78
        .size:           2
        .value_kind:     hidden_remainder_z
      - .offset:         96
        .size:           8
        .value_kind:     hidden_global_offset_x
      - .offset:         104
        .size:           8
        .value_kind:     hidden_global_offset_y
      - .offset:         112
        .size:           8
        .value_kind:     hidden_global_offset_z
      - .offset:         120
        .size:           2
        .value_kind:     hidden_grid_dims
    .group_segment_fixed_size: 1024
    .kernarg_segment_align: 8
    .kernarg_segment_size: 312
    .language:       OpenCL C
    .language_version:
      - 2
      - 0
    .max_flat_workgroup_size: 1024
    .name:           _ZN2at6native12_GLOBAL__N_122pdist_kernel_cuda_implIfNS1_5distsIfE3oneEEEvPT_PKS6_llS6_dd
    .private_segment_fixed_size: 0
    .sgpr_count:     28
    .sgpr_spill_count: 0
    .symbol:         _ZN2at6native12_GLOBAL__N_122pdist_kernel_cuda_implIfNS1_5distsIfE3oneEEEvPT_PKS6_llS6_dd.kd
    .uniform_work_group_size: 1
    .uses_dynamic_stack: false
    .vgpr_count:     16
    .vgpr_spill_count: 0
    .wavefront_size: 64
  - .args:
      - .address_space:  global
        .offset:         0
        .size:           8
        .value_kind:     global_buffer
      - .address_space:  global
        .offset:         8
        .size:           8
        .value_kind:     global_buffer
      - .offset:         16
        .size:           8
        .value_kind:     by_value
      - .offset:         24
        .size:           8
        .value_kind:     by_value
      - .offset:         32
        .size:           4
        .value_kind:     by_value
      - .offset:         40
        .size:           8
        .value_kind:     by_value
      - .offset:         48
        .size:           8
        .value_kind:     by_value
      - .offset:         56
        .size:           4
        .value_kind:     hidden_block_count_x
      - .offset:         60
        .size:           4
        .value_kind:     hidden_block_count_y
      - .offset:         64
        .size:           4
        .value_kind:     hidden_block_count_z
      - .offset:         68
        .size:           2
        .value_kind:     hidden_group_size_x
      - .offset:         70
        .size:           2
        .value_kind:     hidden_group_size_y
      - .offset:         72
        .size:           2
        .value_kind:     hidden_group_size_z
      - .offset:         74
        .size:           2
        .value_kind:     hidden_remainder_x
      - .offset:         76
        .size:           2
        .value_kind:     hidden_remainder_y
      - .offset:         78
        .size:           2
        .value_kind:     hidden_remainder_z
      - .offset:         96
        .size:           8
        .value_kind:     hidden_global_offset_x
      - .offset:         104
        .size:           8
        .value_kind:     hidden_global_offset_y
      - .offset:         112
        .size:           8
        .value_kind:     hidden_global_offset_z
      - .offset:         120
        .size:           2
        .value_kind:     hidden_grid_dims
    .group_segment_fixed_size: 1024
    .kernarg_segment_align: 8
    .kernarg_segment_size: 312
    .language:       OpenCL C
    .language_version:
      - 2
      - 0
    .max_flat_workgroup_size: 1024
    .name:           _ZN2at6native12_GLOBAL__N_122pdist_kernel_cuda_implIfNS1_5distsIfE3twoEEEvPT_PKS6_llS6_dd
    .private_segment_fixed_size: 0
    .sgpr_count:     28
    .sgpr_spill_count: 0
    .symbol:         _ZN2at6native12_GLOBAL__N_122pdist_kernel_cuda_implIfNS1_5distsIfE3twoEEEvPT_PKS6_llS6_dd.kd
    .uniform_work_group_size: 1
    .uses_dynamic_stack: false
    .vgpr_count:     16
    .vgpr_spill_count: 0
    .wavefront_size: 64
  - .args:
      - .address_space:  global
        .offset:         0
        .size:           8
        .value_kind:     global_buffer
      - .address_space:  global
        .offset:         8
        .size:           8
        .value_kind:     global_buffer
      - .offset:         16
        .size:           8
        .value_kind:     by_value
      - .offset:         24
        .size:           8
        .value_kind:     by_value
      - .offset:         32
        .size:           4
        .value_kind:     by_value
      - .offset:         40
        .size:           8
        .value_kind:     by_value
      - .offset:         48
        .size:           8
        .value_kind:     by_value
      - .offset:         56
        .size:           4
        .value_kind:     hidden_block_count_x
      - .offset:         60
        .size:           4
        .value_kind:     hidden_block_count_y
      - .offset:         64
        .size:           4
        .value_kind:     hidden_block_count_z
      - .offset:         68
        .size:           2
        .value_kind:     hidden_group_size_x
      - .offset:         70
        .size:           2
        .value_kind:     hidden_group_size_y
      - .offset:         72
        .size:           2
        .value_kind:     hidden_group_size_z
      - .offset:         74
        .size:           2
        .value_kind:     hidden_remainder_x
      - .offset:         76
        .size:           2
        .value_kind:     hidden_remainder_y
      - .offset:         78
        .size:           2
        .value_kind:     hidden_remainder_z
      - .offset:         96
        .size:           8
        .value_kind:     hidden_global_offset_x
      - .offset:         104
        .size:           8
        .value_kind:     hidden_global_offset_y
      - .offset:         112
        .size:           8
        .value_kind:     hidden_global_offset_z
      - .offset:         120
        .size:           2
        .value_kind:     hidden_grid_dims
    .group_segment_fixed_size: 1024
    .kernarg_segment_align: 8
    .kernarg_segment_size: 312
    .language:       OpenCL C
    .language_version:
      - 2
      - 0
    .max_flat_workgroup_size: 1024
    .name:           _ZN2at6native12_GLOBAL__N_122pdist_kernel_cuda_implIfNS1_5distsIfE3infEEEvPT_PKS6_llS6_dd
    .private_segment_fixed_size: 0
    .sgpr_count:     28
    .sgpr_spill_count: 0
    .symbol:         _ZN2at6native12_GLOBAL__N_122pdist_kernel_cuda_implIfNS1_5distsIfE3infEEEvPT_PKS6_llS6_dd.kd
    .uniform_work_group_size: 1
    .uses_dynamic_stack: false
    .vgpr_count:     16
    .vgpr_spill_count: 0
    .wavefront_size: 64
  - .args:
      - .address_space:  global
        .offset:         0
        .size:           8
        .value_kind:     global_buffer
      - .address_space:  global
        .offset:         8
        .size:           8
        .value_kind:     global_buffer
      - .address_space:  global
        .offset:         16
        .size:           8
        .value_kind:     global_buffer
      - .address_space:  global
        .offset:         24
        .size:           8
        .value_kind:     global_buffer
      - .offset:         32
        .size:           8
        .value_kind:     by_value
      - .offset:         40
        .size:           8
        .value_kind:     by_value
      - .offset:         48
        .size:           8
        .value_kind:     by_value
      - .offset:         56
        .size:           8
        .value_kind:     by_value
      - .offset:         64
        .size:           8
        .value_kind:     by_value
      - .offset:         72
        .size:           8
        .value_kind:     by_value
      - .offset:         80
        .size:           8
        .value_kind:     by_value
      - .offset:         88
        .size:           4
        .value_kind:     hidden_block_count_x
      - .offset:         92
        .size:           4
        .value_kind:     hidden_block_count_y
      - .offset:         96
        .size:           4
        .value_kind:     hidden_block_count_z
      - .offset:         100
        .size:           2
        .value_kind:     hidden_group_size_x
      - .offset:         102
        .size:           2
        .value_kind:     hidden_group_size_y
      - .offset:         104
        .size:           2
        .value_kind:     hidden_group_size_z
      - .offset:         106
        .size:           2
        .value_kind:     hidden_remainder_x
      - .offset:         108
        .size:           2
        .value_kind:     hidden_remainder_y
      - .offset:         110
        .size:           2
        .value_kind:     hidden_remainder_z
      - .offset:         128
        .size:           8
        .value_kind:     hidden_global_offset_x
      - .offset:         136
        .size:           8
        .value_kind:     hidden_global_offset_y
      - .offset:         144
        .size:           8
        .value_kind:     hidden_global_offset_z
      - .offset:         152
        .size:           2
        .value_kind:     hidden_grid_dims
    .group_segment_fixed_size: 0
    .kernarg_segment_align: 8
    .kernarg_segment_size: 344
    .language:       OpenCL C
    .language_version:
      - 2
      - 0
    .max_flat_workgroup_size: 1024
    .name:           _ZN2at6native12_GLOBAL__N_131pdist_backward_kernel_cuda_implIdNS1_5distsIdE1pEEEvPT_PKS6_S9_S9_llllS6_dd
    .private_segment_fixed_size: 0
    .sgpr_count:     85
    .sgpr_spill_count: 0
    .symbol:         _ZN2at6native12_GLOBAL__N_131pdist_backward_kernel_cuda_implIdNS1_5distsIdE1pEEEvPT_PKS6_S9_S9_llllS6_dd.kd
    .uniform_work_group_size: 1
    .uses_dynamic_stack: false
    .vgpr_count:     61
    .vgpr_spill_count: 0
    .wavefront_size: 64
  - .args:
      - .address_space:  global
        .offset:         0
        .size:           8
        .value_kind:     global_buffer
      - .address_space:  global
        .offset:         8
        .size:           8
        .value_kind:     global_buffer
      - .address_space:  global
        .offset:         16
        .size:           8
        .value_kind:     global_buffer
      - .address_space:  global
        .offset:         24
        .size:           8
        .value_kind:     global_buffer
      - .offset:         32
        .size:           8
        .value_kind:     by_value
      - .offset:         40
        .size:           8
        .value_kind:     by_value
      - .offset:         48
        .size:           8
        .value_kind:     by_value
      - .offset:         56
        .size:           8
        .value_kind:     by_value
      - .offset:         64
        .size:           8
        .value_kind:     by_value
      - .offset:         72
        .size:           8
        .value_kind:     by_value
      - .offset:         80
        .size:           8
        .value_kind:     by_value
      - .offset:         88
        .size:           4
        .value_kind:     hidden_block_count_x
      - .offset:         92
        .size:           4
        .value_kind:     hidden_block_count_y
      - .offset:         96
        .size:           4
        .value_kind:     hidden_block_count_z
      - .offset:         100
        .size:           2
        .value_kind:     hidden_group_size_x
      - .offset:         102
        .size:           2
        .value_kind:     hidden_group_size_y
      - .offset:         104
        .size:           2
        .value_kind:     hidden_group_size_z
      - .offset:         106
        .size:           2
        .value_kind:     hidden_remainder_x
      - .offset:         108
        .size:           2
        .value_kind:     hidden_remainder_y
      - .offset:         110
        .size:           2
        .value_kind:     hidden_remainder_z
      - .offset:         128
        .size:           8
        .value_kind:     hidden_global_offset_x
      - .offset:         136
        .size:           8
        .value_kind:     hidden_global_offset_y
      - .offset:         144
        .size:           8
        .value_kind:     hidden_global_offset_z
      - .offset:         152
        .size:           2
        .value_kind:     hidden_grid_dims
    .group_segment_fixed_size: 0
    .kernarg_segment_align: 8
    .kernarg_segment_size: 344
    .language:       OpenCL C
    .language_version:
      - 2
      - 0
    .max_flat_workgroup_size: 1024
    .name:           _ZN2at6native12_GLOBAL__N_131pdist_backward_kernel_cuda_implIdNS1_5distsIdE3oneEEEvPT_PKS6_S9_S9_llllS6_dd
    .private_segment_fixed_size: 0
    .sgpr_count:     22
    .sgpr_spill_count: 0
    .symbol:         _ZN2at6native12_GLOBAL__N_131pdist_backward_kernel_cuda_implIdNS1_5distsIdE3oneEEEvPT_PKS6_S9_S9_llllS6_dd.kd
    .uniform_work_group_size: 1
    .uses_dynamic_stack: false
    .vgpr_count:     24
    .vgpr_spill_count: 0
    .wavefront_size: 64
  - .args:
      - .address_space:  global
        .offset:         0
        .size:           8
        .value_kind:     global_buffer
      - .address_space:  global
        .offset:         8
        .size:           8
        .value_kind:     global_buffer
      - .address_space:  global
        .offset:         16
        .size:           8
        .value_kind:     global_buffer
      - .address_space:  global
        .offset:         24
        .size:           8
        .value_kind:     global_buffer
      - .offset:         32
        .size:           8
        .value_kind:     by_value
      - .offset:         40
        .size:           8
        .value_kind:     by_value
      - .offset:         48
        .size:           8
        .value_kind:     by_value
      - .offset:         56
        .size:           8
        .value_kind:     by_value
      - .offset:         64
        .size:           8
        .value_kind:     by_value
      - .offset:         72
        .size:           8
        .value_kind:     by_value
      - .offset:         80
        .size:           8
        .value_kind:     by_value
      - .offset:         88
        .size:           4
        .value_kind:     hidden_block_count_x
      - .offset:         92
        .size:           4
        .value_kind:     hidden_block_count_y
      - .offset:         96
        .size:           4
        .value_kind:     hidden_block_count_z
      - .offset:         100
        .size:           2
        .value_kind:     hidden_group_size_x
      - .offset:         102
        .size:           2
        .value_kind:     hidden_group_size_y
      - .offset:         104
        .size:           2
        .value_kind:     hidden_group_size_z
      - .offset:         106
        .size:           2
        .value_kind:     hidden_remainder_x
      - .offset:         108
        .size:           2
        .value_kind:     hidden_remainder_y
      - .offset:         110
        .size:           2
        .value_kind:     hidden_remainder_z
      - .offset:         128
        .size:           8
        .value_kind:     hidden_global_offset_x
      - .offset:         136
        .size:           8
        .value_kind:     hidden_global_offset_y
      - .offset:         144
        .size:           8
        .value_kind:     hidden_global_offset_z
      - .offset:         152
        .size:           2
        .value_kind:     hidden_grid_dims
    .group_segment_fixed_size: 0
    .kernarg_segment_align: 8
    .kernarg_segment_size: 344
    .language:       OpenCL C
    .language_version:
      - 2
      - 0
    .max_flat_workgroup_size: 1024
    .name:           _ZN2at6native12_GLOBAL__N_131pdist_backward_kernel_cuda_implIdNS1_5distsIdE6lt_twoEEEvPT_PKS6_S9_S9_llllS6_dd
    .private_segment_fixed_size: 0
    .sgpr_count:     87
    .sgpr_spill_count: 0
    .symbol:         _ZN2at6native12_GLOBAL__N_131pdist_backward_kernel_cuda_implIdNS1_5distsIdE6lt_twoEEEvPT_PKS6_S9_S9_llllS6_dd.kd
    .uniform_work_group_size: 1
    .uses_dynamic_stack: false
    .vgpr_count:     61
    .vgpr_spill_count: 0
    .wavefront_size: 64
  - .args:
      - .address_space:  global
        .offset:         0
        .size:           8
        .value_kind:     global_buffer
      - .address_space:  global
        .offset:         8
        .size:           8
        .value_kind:     global_buffer
      - .address_space:  global
        .offset:         16
        .size:           8
        .value_kind:     global_buffer
      - .address_space:  global
        .offset:         24
        .size:           8
        .value_kind:     global_buffer
      - .offset:         32
        .size:           8
        .value_kind:     by_value
      - .offset:         40
        .size:           8
        .value_kind:     by_value
      - .offset:         48
        .size:           8
        .value_kind:     by_value
      - .offset:         56
        .size:           8
        .value_kind:     by_value
      - .offset:         64
        .size:           8
        .value_kind:     by_value
      - .offset:         72
        .size:           8
        .value_kind:     by_value
      - .offset:         80
        .size:           8
        .value_kind:     by_value
      - .offset:         88
        .size:           4
        .value_kind:     hidden_block_count_x
      - .offset:         92
        .size:           4
        .value_kind:     hidden_block_count_y
      - .offset:         96
        .size:           4
        .value_kind:     hidden_block_count_z
      - .offset:         100
        .size:           2
        .value_kind:     hidden_group_size_x
      - .offset:         102
        .size:           2
        .value_kind:     hidden_group_size_y
      - .offset:         104
        .size:           2
        .value_kind:     hidden_group_size_z
      - .offset:         106
        .size:           2
        .value_kind:     hidden_remainder_x
      - .offset:         108
        .size:           2
        .value_kind:     hidden_remainder_y
      - .offset:         110
        .size:           2
        .value_kind:     hidden_remainder_z
      - .offset:         128
        .size:           8
        .value_kind:     hidden_global_offset_x
      - .offset:         136
        .size:           8
        .value_kind:     hidden_global_offset_y
      - .offset:         144
        .size:           8
        .value_kind:     hidden_global_offset_z
      - .offset:         152
        .size:           2
        .value_kind:     hidden_grid_dims
    .group_segment_fixed_size: 0
    .kernarg_segment_align: 8
    .kernarg_segment_size: 344
    .language:       OpenCL C
    .language_version:
      - 2
      - 0
    .max_flat_workgroup_size: 1024
    .name:           _ZN2at6native12_GLOBAL__N_131pdist_backward_kernel_cuda_implIdNS1_5distsIdE3twoEEEvPT_PKS6_S9_S9_llllS6_dd
    .private_segment_fixed_size: 0
    .sgpr_count:     32
    .sgpr_spill_count: 0
    .symbol:         _ZN2at6native12_GLOBAL__N_131pdist_backward_kernel_cuda_implIdNS1_5distsIdE3twoEEEvPT_PKS6_S9_S9_llllS6_dd.kd
    .uniform_work_group_size: 1
    .uses_dynamic_stack: false
    .vgpr_count:     29
    .vgpr_spill_count: 0
    .wavefront_size: 64
  - .args:
      - .address_space:  global
        .offset:         0
        .size:           8
        .value_kind:     global_buffer
      - .address_space:  global
        .offset:         8
        .size:           8
        .value_kind:     global_buffer
      - .address_space:  global
        .offset:         16
        .size:           8
        .value_kind:     global_buffer
      - .address_space:  global
        .offset:         24
        .size:           8
        .value_kind:     global_buffer
      - .offset:         32
        .size:           8
        .value_kind:     by_value
      - .offset:         40
        .size:           8
        .value_kind:     by_value
      - .offset:         48
        .size:           8
        .value_kind:     by_value
      - .offset:         56
        .size:           8
        .value_kind:     by_value
      - .offset:         64
        .size:           8
        .value_kind:     by_value
      - .offset:         72
        .size:           8
        .value_kind:     by_value
      - .offset:         80
        .size:           8
        .value_kind:     by_value
      - .offset:         88
        .size:           4
        .value_kind:     hidden_block_count_x
      - .offset:         92
        .size:           4
        .value_kind:     hidden_block_count_y
      - .offset:         96
        .size:           4
        .value_kind:     hidden_block_count_z
      - .offset:         100
        .size:           2
        .value_kind:     hidden_group_size_x
      - .offset:         102
        .size:           2
        .value_kind:     hidden_group_size_y
      - .offset:         104
        .size:           2
        .value_kind:     hidden_group_size_z
      - .offset:         106
        .size:           2
        .value_kind:     hidden_remainder_x
      - .offset:         108
        .size:           2
        .value_kind:     hidden_remainder_y
      - .offset:         110
        .size:           2
        .value_kind:     hidden_remainder_z
      - .offset:         128
        .size:           8
        .value_kind:     hidden_global_offset_x
      - .offset:         136
        .size:           8
        .value_kind:     hidden_global_offset_y
      - .offset:         144
        .size:           8
        .value_kind:     hidden_global_offset_z
      - .offset:         152
        .size:           2
        .value_kind:     hidden_grid_dims
    .group_segment_fixed_size: 0
    .kernarg_segment_align: 8
    .kernarg_segment_size: 344
    .language:       OpenCL C
    .language_version:
      - 2
      - 0
    .max_flat_workgroup_size: 1024
    .name:           _ZN2at6native12_GLOBAL__N_131pdist_backward_kernel_cuda_implIdNS1_5distsIdE3infEEEvPT_PKS6_S9_S9_llllS6_dd
    .private_segment_fixed_size: 0
    .sgpr_count:     32
    .sgpr_spill_count: 0
    .symbol:         _ZN2at6native12_GLOBAL__N_131pdist_backward_kernel_cuda_implIdNS1_5distsIdE3infEEEvPT_PKS6_S9_S9_llllS6_dd.kd
    .uniform_work_group_size: 1
    .uses_dynamic_stack: false
    .vgpr_count:     29
    .vgpr_spill_count: 0
    .wavefront_size: 64
  - .args:
      - .address_space:  global
        .offset:         0
        .size:           8
        .value_kind:     global_buffer
      - .address_space:  global
        .offset:         8
        .size:           8
        .value_kind:     global_buffer
      - .address_space:  global
        .offset:         16
        .size:           8
        .value_kind:     global_buffer
      - .address_space:  global
        .offset:         24
        .size:           8
        .value_kind:     global_buffer
      - .offset:         32
        .size:           8
        .value_kind:     by_value
      - .offset:         40
        .size:           8
        .value_kind:     by_value
      - .offset:         48
        .size:           8
        .value_kind:     by_value
      - .offset:         56
        .size:           8
        .value_kind:     by_value
      - .offset:         64
        .size:           4
        .value_kind:     by_value
      - .offset:         72
        .size:           8
        .value_kind:     by_value
      - .offset:         80
        .size:           8
        .value_kind:     by_value
      - .offset:         88
        .size:           4
        .value_kind:     hidden_block_count_x
      - .offset:         92
        .size:           4
        .value_kind:     hidden_block_count_y
      - .offset:         96
        .size:           4
        .value_kind:     hidden_block_count_z
      - .offset:         100
        .size:           2
        .value_kind:     hidden_group_size_x
      - .offset:         102
        .size:           2
        .value_kind:     hidden_group_size_y
      - .offset:         104
        .size:           2
        .value_kind:     hidden_group_size_z
      - .offset:         106
        .size:           2
        .value_kind:     hidden_remainder_x
      - .offset:         108
        .size:           2
        .value_kind:     hidden_remainder_y
      - .offset:         110
        .size:           2
        .value_kind:     hidden_remainder_z
      - .offset:         128
        .size:           8
        .value_kind:     hidden_global_offset_x
      - .offset:         136
        .size:           8
        .value_kind:     hidden_global_offset_y
      - .offset:         144
        .size:           8
        .value_kind:     hidden_global_offset_z
      - .offset:         152
        .size:           2
        .value_kind:     hidden_grid_dims
    .group_segment_fixed_size: 0
    .kernarg_segment_align: 8
    .kernarg_segment_size: 344
    .language:       OpenCL C
    .language_version:
      - 2
      - 0
    .max_flat_workgroup_size: 1024
    .name:           _ZN2at6native12_GLOBAL__N_131pdist_backward_kernel_cuda_implIfNS1_5distsIfE1pEEEvPT_PKS6_S9_S9_llllS6_dd
    .private_segment_fixed_size: 0
    .sgpr_count:     33
    .sgpr_spill_count: 0
    .symbol:         _ZN2at6native12_GLOBAL__N_131pdist_backward_kernel_cuda_implIfNS1_5distsIfE1pEEEvPT_PKS6_S9_S9_llllS6_dd.kd
    .uniform_work_group_size: 1
    .uses_dynamic_stack: false
    .vgpr_count:     34
    .vgpr_spill_count: 0
    .wavefront_size: 64
  - .args:
      - .address_space:  global
        .offset:         0
        .size:           8
        .value_kind:     global_buffer
      - .address_space:  global
        .offset:         8
        .size:           8
        .value_kind:     global_buffer
      - .address_space:  global
        .offset:         16
        .size:           8
        .value_kind:     global_buffer
      - .address_space:  global
        .offset:         24
        .size:           8
        .value_kind:     global_buffer
      - .offset:         32
        .size:           8
        .value_kind:     by_value
      - .offset:         40
        .size:           8
        .value_kind:     by_value
      - .offset:         48
        .size:           8
        .value_kind:     by_value
      - .offset:         56
        .size:           8
        .value_kind:     by_value
      - .offset:         64
        .size:           4
        .value_kind:     by_value
      - .offset:         72
        .size:           8
        .value_kind:     by_value
      - .offset:         80
        .size:           8
        .value_kind:     by_value
      - .offset:         88
        .size:           4
        .value_kind:     hidden_block_count_x
      - .offset:         92
        .size:           4
        .value_kind:     hidden_block_count_y
      - .offset:         96
        .size:           4
        .value_kind:     hidden_block_count_z
      - .offset:         100
        .size:           2
        .value_kind:     hidden_group_size_x
      - .offset:         102
        .size:           2
        .value_kind:     hidden_group_size_y
      - .offset:         104
        .size:           2
        .value_kind:     hidden_group_size_z
      - .offset:         106
        .size:           2
        .value_kind:     hidden_remainder_x
      - .offset:         108
        .size:           2
        .value_kind:     hidden_remainder_y
      - .offset:         110
        .size:           2
        .value_kind:     hidden_remainder_z
      - .offset:         128
        .size:           8
        .value_kind:     hidden_global_offset_x
      - .offset:         136
        .size:           8
        .value_kind:     hidden_global_offset_y
      - .offset:         144
        .size:           8
        .value_kind:     hidden_global_offset_z
      - .offset:         152
        .size:           2
        .value_kind:     hidden_grid_dims
    .group_segment_fixed_size: 0
    .kernarg_segment_align: 8
    .kernarg_segment_size: 344
    .language:       OpenCL C
    .language_version:
      - 2
      - 0
    .max_flat_workgroup_size: 1024
    .name:           _ZN2at6native12_GLOBAL__N_131pdist_backward_kernel_cuda_implIfNS1_5distsIfE3oneEEEvPT_PKS6_S9_S9_llllS6_dd
    .private_segment_fixed_size: 0
    .sgpr_count:     22
    .sgpr_spill_count: 0
    .symbol:         _ZN2at6native12_GLOBAL__N_131pdist_backward_kernel_cuda_implIfNS1_5distsIfE3oneEEEvPT_PKS6_S9_S9_llllS6_dd.kd
    .uniform_work_group_size: 1
    .uses_dynamic_stack: false
    .vgpr_count:     22
    .vgpr_spill_count: 0
    .wavefront_size: 64
  - .args:
      - .address_space:  global
        .offset:         0
        .size:           8
        .value_kind:     global_buffer
      - .address_space:  global
        .offset:         8
        .size:           8
        .value_kind:     global_buffer
      - .address_space:  global
        .offset:         16
        .size:           8
        .value_kind:     global_buffer
      - .address_space:  global
        .offset:         24
        .size:           8
        .value_kind:     global_buffer
      - .offset:         32
        .size:           8
        .value_kind:     by_value
      - .offset:         40
        .size:           8
        .value_kind:     by_value
      - .offset:         48
        .size:           8
        .value_kind:     by_value
      - .offset:         56
        .size:           8
        .value_kind:     by_value
      - .offset:         64
        .size:           4
        .value_kind:     by_value
      - .offset:         72
        .size:           8
        .value_kind:     by_value
      - .offset:         80
        .size:           8
        .value_kind:     by_value
      - .offset:         88
        .size:           4
        .value_kind:     hidden_block_count_x
      - .offset:         92
        .size:           4
        .value_kind:     hidden_block_count_y
      - .offset:         96
        .size:           4
        .value_kind:     hidden_block_count_z
      - .offset:         100
        .size:           2
        .value_kind:     hidden_group_size_x
      - .offset:         102
        .size:           2
        .value_kind:     hidden_group_size_y
      - .offset:         104
        .size:           2
        .value_kind:     hidden_group_size_z
      - .offset:         106
        .size:           2
        .value_kind:     hidden_remainder_x
      - .offset:         108
        .size:           2
        .value_kind:     hidden_remainder_y
      - .offset:         110
        .size:           2
        .value_kind:     hidden_remainder_z
      - .offset:         128
        .size:           8
        .value_kind:     hidden_global_offset_x
      - .offset:         136
        .size:           8
        .value_kind:     hidden_global_offset_y
      - .offset:         144
        .size:           8
        .value_kind:     hidden_global_offset_z
      - .offset:         152
        .size:           2
        .value_kind:     hidden_grid_dims
    .group_segment_fixed_size: 0
    .kernarg_segment_align: 8
    .kernarg_segment_size: 344
    .language:       OpenCL C
    .language_version:
      - 2
      - 0
    .max_flat_workgroup_size: 1024
    .name:           _ZN2at6native12_GLOBAL__N_131pdist_backward_kernel_cuda_implIfNS1_5distsIfE6lt_twoEEEvPT_PKS6_S9_S9_llllS6_dd
    .private_segment_fixed_size: 0
    .sgpr_count:     32
    .sgpr_spill_count: 0
    .symbol:         _ZN2at6native12_GLOBAL__N_131pdist_backward_kernel_cuda_implIfNS1_5distsIfE6lt_twoEEEvPT_PKS6_S9_S9_llllS6_dd.kd
    .uniform_work_group_size: 1
    .uses_dynamic_stack: false
    .vgpr_count:     35
    .vgpr_spill_count: 0
    .wavefront_size: 64
  - .args:
      - .address_space:  global
        .offset:         0
        .size:           8
        .value_kind:     global_buffer
      - .address_space:  global
        .offset:         8
        .size:           8
        .value_kind:     global_buffer
      - .address_space:  global
        .offset:         16
        .size:           8
        .value_kind:     global_buffer
      - .address_space:  global
        .offset:         24
        .size:           8
        .value_kind:     global_buffer
      - .offset:         32
        .size:           8
        .value_kind:     by_value
      - .offset:         40
        .size:           8
        .value_kind:     by_value
      - .offset:         48
        .size:           8
        .value_kind:     by_value
      - .offset:         56
        .size:           8
        .value_kind:     by_value
      - .offset:         64
        .size:           4
        .value_kind:     by_value
      - .offset:         72
        .size:           8
        .value_kind:     by_value
      - .offset:         80
        .size:           8
        .value_kind:     by_value
      - .offset:         88
        .size:           4
        .value_kind:     hidden_block_count_x
      - .offset:         92
        .size:           4
        .value_kind:     hidden_block_count_y
      - .offset:         96
        .size:           4
        .value_kind:     hidden_block_count_z
      - .offset:         100
        .size:           2
        .value_kind:     hidden_group_size_x
      - .offset:         102
        .size:           2
        .value_kind:     hidden_group_size_y
      - .offset:         104
        .size:           2
        .value_kind:     hidden_group_size_z
      - .offset:         106
        .size:           2
        .value_kind:     hidden_remainder_x
      - .offset:         108
        .size:           2
        .value_kind:     hidden_remainder_y
      - .offset:         110
        .size:           2
        .value_kind:     hidden_remainder_z
      - .offset:         128
        .size:           8
        .value_kind:     hidden_global_offset_x
      - .offset:         136
        .size:           8
        .value_kind:     hidden_global_offset_y
      - .offset:         144
        .size:           8
        .value_kind:     hidden_global_offset_z
      - .offset:         152
        .size:           2
        .value_kind:     hidden_grid_dims
    .group_segment_fixed_size: 0
    .kernarg_segment_align: 8
    .kernarg_segment_size: 344
    .language:       OpenCL C
    .language_version:
      - 2
      - 0
    .max_flat_workgroup_size: 1024
    .name:           _ZN2at6native12_GLOBAL__N_131pdist_backward_kernel_cuda_implIfNS1_5distsIfE3twoEEEvPT_PKS6_S9_S9_llllS6_dd
    .private_segment_fixed_size: 0
    .sgpr_count:     32
    .sgpr_spill_count: 0
    .symbol:         _ZN2at6native12_GLOBAL__N_131pdist_backward_kernel_cuda_implIfNS1_5distsIfE3twoEEEvPT_PKS6_S9_S9_llllS6_dd.kd
    .uniform_work_group_size: 1
    .uses_dynamic_stack: false
    .vgpr_count:     23
    .vgpr_spill_count: 0
    .wavefront_size: 64
  - .args:
      - .address_space:  global
        .offset:         0
        .size:           8
        .value_kind:     global_buffer
      - .address_space:  global
        .offset:         8
        .size:           8
        .value_kind:     global_buffer
      - .address_space:  global
        .offset:         16
        .size:           8
        .value_kind:     global_buffer
      - .address_space:  global
        .offset:         24
        .size:           8
        .value_kind:     global_buffer
      - .offset:         32
        .size:           8
        .value_kind:     by_value
      - .offset:         40
        .size:           8
        .value_kind:     by_value
      - .offset:         48
        .size:           8
        .value_kind:     by_value
      - .offset:         56
        .size:           8
        .value_kind:     by_value
      - .offset:         64
        .size:           4
        .value_kind:     by_value
      - .offset:         72
        .size:           8
        .value_kind:     by_value
      - .offset:         80
        .size:           8
        .value_kind:     by_value
      - .offset:         88
        .size:           4
        .value_kind:     hidden_block_count_x
      - .offset:         92
        .size:           4
        .value_kind:     hidden_block_count_y
      - .offset:         96
        .size:           4
        .value_kind:     hidden_block_count_z
      - .offset:         100
        .size:           2
        .value_kind:     hidden_group_size_x
      - .offset:         102
        .size:           2
        .value_kind:     hidden_group_size_y
      - .offset:         104
        .size:           2
        .value_kind:     hidden_group_size_z
      - .offset:         106
        .size:           2
        .value_kind:     hidden_remainder_x
      - .offset:         108
        .size:           2
        .value_kind:     hidden_remainder_y
      - .offset:         110
        .size:           2
        .value_kind:     hidden_remainder_z
      - .offset:         128
        .size:           8
        .value_kind:     hidden_global_offset_x
      - .offset:         136
        .size:           8
        .value_kind:     hidden_global_offset_y
      - .offset:         144
        .size:           8
        .value_kind:     hidden_global_offset_z
      - .offset:         152
        .size:           2
        .value_kind:     hidden_grid_dims
    .group_segment_fixed_size: 0
    .kernarg_segment_align: 8
    .kernarg_segment_size: 344
    .language:       OpenCL C
    .language_version:
      - 2
      - 0
    .max_flat_workgroup_size: 1024
    .name:           _ZN2at6native12_GLOBAL__N_131pdist_backward_kernel_cuda_implIfNS1_5distsIfE3infEEEvPT_PKS6_S9_S9_llllS6_dd
    .private_segment_fixed_size: 0
    .sgpr_count:     32
    .sgpr_spill_count: 0
    .symbol:         _ZN2at6native12_GLOBAL__N_131pdist_backward_kernel_cuda_implIfNS1_5distsIfE3infEEEvPT_PKS6_S9_S9_llllS6_dd.kd
    .uniform_work_group_size: 1
    .uses_dynamic_stack: false
    .vgpr_count:     22
    .vgpr_spill_count: 0
    .wavefront_size: 64
  - .args:
      - .address_space:  global
        .offset:         0
        .size:           8
        .value_kind:     global_buffer
      - .address_space:  global
        .offset:         8
        .size:           8
        .value_kind:     global_buffer
      - .address_space:  global
        .offset:         16
        .size:           8
        .value_kind:     global_buffer
      - .address_space:  global
        .offset:         24
        .size:           8
        .value_kind:     global_buffer
      - .address_space:  global
        .offset:         32
        .size:           8
        .value_kind:     global_buffer
      - .offset:         40
        .size:           8
        .value_kind:     by_value
      - .offset:         48
        .size:           8
        .value_kind:     by_value
      - .offset:         56
        .size:           8
        .value_kind:     by_value
      - .offset:         64
        .size:           8
        .value_kind:     by_value
      - .offset:         72
        .size:           8
        .value_kind:     by_value
      - .offset:         80
        .size:           8
        .value_kind:     by_value
      - .offset:         88
        .size:           8
        .value_kind:     by_value
      - .offset:         96
        .size:           8
        .value_kind:     by_value
      - .offset:         104
        .size:           4
        .value_kind:     hidden_block_count_x
      - .offset:         108
        .size:           4
        .value_kind:     hidden_block_count_y
      - .offset:         112
        .size:           4
        .value_kind:     hidden_block_count_z
      - .offset:         116
        .size:           2
        .value_kind:     hidden_group_size_x
      - .offset:         118
        .size:           2
        .value_kind:     hidden_group_size_y
      - .offset:         120
        .size:           2
        .value_kind:     hidden_group_size_z
      - .offset:         122
        .size:           2
        .value_kind:     hidden_remainder_x
      - .offset:         124
        .size:           2
        .value_kind:     hidden_remainder_y
      - .offset:         126
        .size:           2
        .value_kind:     hidden_remainder_z
      - .offset:         144
        .size:           8
        .value_kind:     hidden_global_offset_x
      - .offset:         152
        .size:           8
        .value_kind:     hidden_global_offset_y
      - .offset:         160
        .size:           8
        .value_kind:     hidden_global_offset_z
      - .offset:         168
        .size:           2
        .value_kind:     hidden_grid_dims
    .group_segment_fixed_size: 0
    .kernarg_segment_align: 8
    .kernarg_segment_size: 360
    .language:       OpenCL C
    .language_version:
      - 2
      - 0
    .max_flat_workgroup_size: 1024
    .name:           _ZN2at6native12_GLOBAL__N_131cdist_backward_kernel_cuda_implIdNS1_5distsIdE1pEEEvPT_PKS6_S9_S9_S9_S6_lllllll
    .private_segment_fixed_size: 0
    .sgpr_count:     87
    .sgpr_spill_count: 0
    .symbol:         _ZN2at6native12_GLOBAL__N_131cdist_backward_kernel_cuda_implIdNS1_5distsIdE1pEEEvPT_PKS6_S9_S9_S9_S6_lllllll.kd
    .uniform_work_group_size: 1
    .uses_dynamic_stack: false
    .vgpr_count:     60
    .vgpr_spill_count: 0
    .wavefront_size: 64
  - .args:
      - .address_space:  global
        .offset:         0
        .size:           8
        .value_kind:     global_buffer
      - .address_space:  global
        .offset:         8
        .size:           8
        .value_kind:     global_buffer
      - .address_space:  global
        .offset:         16
        .size:           8
        .value_kind:     global_buffer
      - .address_space:  global
        .offset:         24
        .size:           8
        .value_kind:     global_buffer
      - .address_space:  global
        .offset:         32
        .size:           8
        .value_kind:     global_buffer
      - .offset:         40
        .size:           8
        .value_kind:     by_value
      - .offset:         48
        .size:           8
        .value_kind:     by_value
      - .offset:         56
        .size:           8
        .value_kind:     by_value
      - .offset:         64
        .size:           8
        .value_kind:     by_value
      - .offset:         72
        .size:           8
        .value_kind:     by_value
      - .offset:         80
        .size:           8
        .value_kind:     by_value
      - .offset:         88
        .size:           8
        .value_kind:     by_value
      - .offset:         96
        .size:           8
        .value_kind:     by_value
      - .offset:         104
        .size:           4
        .value_kind:     hidden_block_count_x
      - .offset:         108
        .size:           4
        .value_kind:     hidden_block_count_y
      - .offset:         112
        .size:           4
        .value_kind:     hidden_block_count_z
      - .offset:         116
        .size:           2
        .value_kind:     hidden_group_size_x
      - .offset:         118
        .size:           2
        .value_kind:     hidden_group_size_y
      - .offset:         120
        .size:           2
        .value_kind:     hidden_group_size_z
      - .offset:         122
        .size:           2
        .value_kind:     hidden_remainder_x
      - .offset:         124
        .size:           2
        .value_kind:     hidden_remainder_y
      - .offset:         126
        .size:           2
        .value_kind:     hidden_remainder_z
      - .offset:         144
        .size:           8
        .value_kind:     hidden_global_offset_x
      - .offset:         152
        .size:           8
        .value_kind:     hidden_global_offset_y
      - .offset:         160
        .size:           8
        .value_kind:     hidden_global_offset_z
      - .offset:         168
        .size:           2
        .value_kind:     hidden_grid_dims
    .group_segment_fixed_size: 0
    .kernarg_segment_align: 8
    .kernarg_segment_size: 360
    .language:       OpenCL C
    .language_version:
      - 2
      - 0
    .max_flat_workgroup_size: 1024
    .name:           _ZN2at6native12_GLOBAL__N_131cdist_backward_kernel_cuda_implIdNS1_5distsIdE3oneEEEvPT_PKS6_S9_S9_S9_S6_lllllll
    .private_segment_fixed_size: 0
    .sgpr_count:     48
    .sgpr_spill_count: 0
    .symbol:         _ZN2at6native12_GLOBAL__N_131cdist_backward_kernel_cuda_implIdNS1_5distsIdE3oneEEEvPT_PKS6_S9_S9_S9_S6_lllllll.kd
    .uniform_work_group_size: 1
    .uses_dynamic_stack: false
    .vgpr_count:     22
    .vgpr_spill_count: 0
    .wavefront_size: 64
  - .args:
      - .address_space:  global
        .offset:         0
        .size:           8
        .value_kind:     global_buffer
      - .address_space:  global
        .offset:         8
        .size:           8
        .value_kind:     global_buffer
      - .address_space:  global
        .offset:         16
        .size:           8
        .value_kind:     global_buffer
      - .address_space:  global
        .offset:         24
        .size:           8
        .value_kind:     global_buffer
      - .address_space:  global
        .offset:         32
        .size:           8
        .value_kind:     global_buffer
      - .offset:         40
        .size:           8
        .value_kind:     by_value
      - .offset:         48
        .size:           8
        .value_kind:     by_value
      - .offset:         56
        .size:           8
        .value_kind:     by_value
      - .offset:         64
        .size:           8
        .value_kind:     by_value
      - .offset:         72
        .size:           8
        .value_kind:     by_value
      - .offset:         80
        .size:           8
        .value_kind:     by_value
      - .offset:         88
        .size:           8
        .value_kind:     by_value
      - .offset:         96
        .size:           8
        .value_kind:     by_value
      - .offset:         104
        .size:           4
        .value_kind:     hidden_block_count_x
      - .offset:         108
        .size:           4
        .value_kind:     hidden_block_count_y
      - .offset:         112
        .size:           4
        .value_kind:     hidden_block_count_z
      - .offset:         116
        .size:           2
        .value_kind:     hidden_group_size_x
      - .offset:         118
        .size:           2
        .value_kind:     hidden_group_size_y
      - .offset:         120
        .size:           2
        .value_kind:     hidden_group_size_z
      - .offset:         122
        .size:           2
        .value_kind:     hidden_remainder_x
      - .offset:         124
        .size:           2
        .value_kind:     hidden_remainder_y
      - .offset:         126
        .size:           2
        .value_kind:     hidden_remainder_z
      - .offset:         144
        .size:           8
        .value_kind:     hidden_global_offset_x
      - .offset:         152
        .size:           8
        .value_kind:     hidden_global_offset_y
      - .offset:         160
        .size:           8
        .value_kind:     hidden_global_offset_z
      - .offset:         168
        .size:           2
        .value_kind:     hidden_grid_dims
    .group_segment_fixed_size: 0
    .kernarg_segment_align: 8
    .kernarg_segment_size: 360
    .language:       OpenCL C
    .language_version:
      - 2
      - 0
    .max_flat_workgroup_size: 1024
    .name:           _ZN2at6native12_GLOBAL__N_131cdist_backward_kernel_cuda_implIdNS1_5distsIdE6lt_twoEEEvPT_PKS6_S9_S9_S9_S6_lllllll
    .private_segment_fixed_size: 0
    .sgpr_count:     87
    .sgpr_spill_count: 0
    .symbol:         _ZN2at6native12_GLOBAL__N_131cdist_backward_kernel_cuda_implIdNS1_5distsIdE6lt_twoEEEvPT_PKS6_S9_S9_S9_S6_lllllll.kd
    .uniform_work_group_size: 1
    .uses_dynamic_stack: false
    .vgpr_count:     59
    .vgpr_spill_count: 0
    .wavefront_size: 64
  - .args:
      - .address_space:  global
        .offset:         0
        .size:           8
        .value_kind:     global_buffer
      - .address_space:  global
        .offset:         8
        .size:           8
        .value_kind:     global_buffer
      - .address_space:  global
        .offset:         16
        .size:           8
        .value_kind:     global_buffer
      - .address_space:  global
        .offset:         24
        .size:           8
        .value_kind:     global_buffer
      - .address_space:  global
        .offset:         32
        .size:           8
        .value_kind:     global_buffer
      - .offset:         40
        .size:           8
        .value_kind:     by_value
      - .offset:         48
        .size:           8
        .value_kind:     by_value
      - .offset:         56
        .size:           8
        .value_kind:     by_value
      - .offset:         64
        .size:           8
        .value_kind:     by_value
      - .offset:         72
        .size:           8
        .value_kind:     by_value
      - .offset:         80
        .size:           8
        .value_kind:     by_value
      - .offset:         88
        .size:           8
        .value_kind:     by_value
      - .offset:         96
        .size:           8
        .value_kind:     by_value
      - .offset:         104
        .size:           4
        .value_kind:     hidden_block_count_x
      - .offset:         108
        .size:           4
        .value_kind:     hidden_block_count_y
      - .offset:         112
        .size:           4
        .value_kind:     hidden_block_count_z
      - .offset:         116
        .size:           2
        .value_kind:     hidden_group_size_x
      - .offset:         118
        .size:           2
        .value_kind:     hidden_group_size_y
      - .offset:         120
        .size:           2
        .value_kind:     hidden_group_size_z
      - .offset:         122
        .size:           2
        .value_kind:     hidden_remainder_x
      - .offset:         124
        .size:           2
        .value_kind:     hidden_remainder_y
      - .offset:         126
        .size:           2
        .value_kind:     hidden_remainder_z
      - .offset:         144
        .size:           8
        .value_kind:     hidden_global_offset_x
      - .offset:         152
        .size:           8
        .value_kind:     hidden_global_offset_y
      - .offset:         160
        .size:           8
        .value_kind:     hidden_global_offset_z
      - .offset:         168
        .size:           2
        .value_kind:     hidden_grid_dims
    .group_segment_fixed_size: 0
    .kernarg_segment_align: 8
    .kernarg_segment_size: 360
    .language:       OpenCL C
    .language_version:
      - 2
      - 0
    .max_flat_workgroup_size: 1024
    .name:           _ZN2at6native12_GLOBAL__N_131cdist_backward_kernel_cuda_implIdNS1_5distsIdE3twoEEEvPT_PKS6_S9_S9_S9_S6_lllllll
    .private_segment_fixed_size: 0
    .sgpr_count:     48
    .sgpr_spill_count: 0
    .symbol:         _ZN2at6native12_GLOBAL__N_131cdist_backward_kernel_cuda_implIdNS1_5distsIdE3twoEEEvPT_PKS6_S9_S9_S9_S6_lllllll.kd
    .uniform_work_group_size: 1
    .uses_dynamic_stack: false
    .vgpr_count:     26
    .vgpr_spill_count: 0
    .wavefront_size: 64
  - .args:
      - .address_space:  global
        .offset:         0
        .size:           8
        .value_kind:     global_buffer
      - .address_space:  global
        .offset:         8
        .size:           8
        .value_kind:     global_buffer
      - .address_space:  global
        .offset:         16
        .size:           8
        .value_kind:     global_buffer
      - .address_space:  global
        .offset:         24
        .size:           8
        .value_kind:     global_buffer
      - .address_space:  global
        .offset:         32
        .size:           8
        .value_kind:     global_buffer
      - .offset:         40
        .size:           8
        .value_kind:     by_value
      - .offset:         48
        .size:           8
        .value_kind:     by_value
      - .offset:         56
        .size:           8
        .value_kind:     by_value
      - .offset:         64
        .size:           8
        .value_kind:     by_value
      - .offset:         72
        .size:           8
        .value_kind:     by_value
      - .offset:         80
        .size:           8
        .value_kind:     by_value
      - .offset:         88
        .size:           8
        .value_kind:     by_value
      - .offset:         96
        .size:           8
        .value_kind:     by_value
      - .offset:         104
        .size:           4
        .value_kind:     hidden_block_count_x
      - .offset:         108
        .size:           4
        .value_kind:     hidden_block_count_y
      - .offset:         112
        .size:           4
        .value_kind:     hidden_block_count_z
      - .offset:         116
        .size:           2
        .value_kind:     hidden_group_size_x
      - .offset:         118
        .size:           2
        .value_kind:     hidden_group_size_y
      - .offset:         120
        .size:           2
        .value_kind:     hidden_group_size_z
      - .offset:         122
        .size:           2
        .value_kind:     hidden_remainder_x
      - .offset:         124
        .size:           2
        .value_kind:     hidden_remainder_y
      - .offset:         126
        .size:           2
        .value_kind:     hidden_remainder_z
      - .offset:         144
        .size:           8
        .value_kind:     hidden_global_offset_x
      - .offset:         152
        .size:           8
        .value_kind:     hidden_global_offset_y
      - .offset:         160
        .size:           8
        .value_kind:     hidden_global_offset_z
      - .offset:         168
        .size:           2
        .value_kind:     hidden_grid_dims
    .group_segment_fixed_size: 0
    .kernarg_segment_align: 8
    .kernarg_segment_size: 360
    .language:       OpenCL C
    .language_version:
      - 2
      - 0
    .max_flat_workgroup_size: 1024
    .name:           _ZN2at6native12_GLOBAL__N_131cdist_backward_kernel_cuda_implIdNS1_5distsIdE3infEEEvPT_PKS6_S9_S9_S9_S6_lllllll
    .private_segment_fixed_size: 0
    .sgpr_count:     48
    .sgpr_spill_count: 0
    .symbol:         _ZN2at6native12_GLOBAL__N_131cdist_backward_kernel_cuda_implIdNS1_5distsIdE3infEEEvPT_PKS6_S9_S9_S9_S6_lllllll.kd
    .uniform_work_group_size: 1
    .uses_dynamic_stack: false
    .vgpr_count:     27
    .vgpr_spill_count: 0
    .wavefront_size: 64
  - .args:
      - .address_space:  global
        .offset:         0
        .size:           8
        .value_kind:     global_buffer
      - .address_space:  global
        .offset:         8
        .size:           8
        .value_kind:     global_buffer
      - .address_space:  global
        .offset:         16
        .size:           8
        .value_kind:     global_buffer
      - .address_space:  global
        .offset:         24
        .size:           8
        .value_kind:     global_buffer
      - .address_space:  global
        .offset:         32
        .size:           8
        .value_kind:     global_buffer
      - .offset:         40
        .size:           4
        .value_kind:     by_value
      - .offset:         48
        .size:           8
        .value_kind:     by_value
      - .offset:         56
        .size:           8
        .value_kind:     by_value
      - .offset:         64
        .size:           8
        .value_kind:     by_value
      - .offset:         72
        .size:           8
        .value_kind:     by_value
      - .offset:         80
        .size:           8
        .value_kind:     by_value
      - .offset:         88
        .size:           8
        .value_kind:     by_value
      - .offset:         96
        .size:           8
        .value_kind:     by_value
      - .offset:         104
        .size:           4
        .value_kind:     hidden_block_count_x
      - .offset:         108
        .size:           4
        .value_kind:     hidden_block_count_y
      - .offset:         112
        .size:           4
        .value_kind:     hidden_block_count_z
      - .offset:         116
        .size:           2
        .value_kind:     hidden_group_size_x
      - .offset:         118
        .size:           2
        .value_kind:     hidden_group_size_y
      - .offset:         120
        .size:           2
        .value_kind:     hidden_group_size_z
      - .offset:         122
        .size:           2
        .value_kind:     hidden_remainder_x
      - .offset:         124
        .size:           2
        .value_kind:     hidden_remainder_y
      - .offset:         126
        .size:           2
        .value_kind:     hidden_remainder_z
      - .offset:         144
        .size:           8
        .value_kind:     hidden_global_offset_x
      - .offset:         152
        .size:           8
        .value_kind:     hidden_global_offset_y
      - .offset:         160
        .size:           8
        .value_kind:     hidden_global_offset_z
      - .offset:         168
        .size:           2
        .value_kind:     hidden_grid_dims
    .group_segment_fixed_size: 0
    .kernarg_segment_align: 8
    .kernarg_segment_size: 360
    .language:       OpenCL C
    .language_version:
      - 2
      - 0
    .max_flat_workgroup_size: 1024
    .name:           _ZN2at6native12_GLOBAL__N_131cdist_backward_kernel_cuda_implIfNS1_5distsIfE1pEEEvPT_PKS6_S9_S9_S9_S6_lllllll
    .private_segment_fixed_size: 0
    .sgpr_count:     48
    .sgpr_spill_count: 0
    .symbol:         _ZN2at6native12_GLOBAL__N_131cdist_backward_kernel_cuda_implIfNS1_5distsIfE1pEEEvPT_PKS6_S9_S9_S9_S6_lllllll.kd
    .uniform_work_group_size: 1
    .uses_dynamic_stack: false
    .vgpr_count:     31
    .vgpr_spill_count: 0
    .wavefront_size: 64
  - .args:
      - .address_space:  global
        .offset:         0
        .size:           8
        .value_kind:     global_buffer
      - .address_space:  global
        .offset:         8
        .size:           8
        .value_kind:     global_buffer
      - .address_space:  global
        .offset:         16
        .size:           8
        .value_kind:     global_buffer
      - .address_space:  global
        .offset:         24
        .size:           8
        .value_kind:     global_buffer
      - .address_space:  global
        .offset:         32
        .size:           8
        .value_kind:     global_buffer
      - .offset:         40
        .size:           4
        .value_kind:     by_value
      - .offset:         48
        .size:           8
        .value_kind:     by_value
      - .offset:         56
        .size:           8
        .value_kind:     by_value
      - .offset:         64
        .size:           8
        .value_kind:     by_value
      - .offset:         72
        .size:           8
        .value_kind:     by_value
      - .offset:         80
        .size:           8
        .value_kind:     by_value
      - .offset:         88
        .size:           8
        .value_kind:     by_value
      - .offset:         96
        .size:           8
        .value_kind:     by_value
      - .offset:         104
        .size:           4
        .value_kind:     hidden_block_count_x
      - .offset:         108
        .size:           4
        .value_kind:     hidden_block_count_y
      - .offset:         112
        .size:           4
        .value_kind:     hidden_block_count_z
      - .offset:         116
        .size:           2
        .value_kind:     hidden_group_size_x
      - .offset:         118
        .size:           2
        .value_kind:     hidden_group_size_y
      - .offset:         120
        .size:           2
        .value_kind:     hidden_group_size_z
      - .offset:         122
        .size:           2
        .value_kind:     hidden_remainder_x
      - .offset:         124
        .size:           2
        .value_kind:     hidden_remainder_y
      - .offset:         126
        .size:           2
        .value_kind:     hidden_remainder_z
      - .offset:         144
        .size:           8
        .value_kind:     hidden_global_offset_x
      - .offset:         152
        .size:           8
        .value_kind:     hidden_global_offset_y
      - .offset:         160
        .size:           8
        .value_kind:     hidden_global_offset_z
      - .offset:         168
        .size:           2
        .value_kind:     hidden_grid_dims
    .group_segment_fixed_size: 0
    .kernarg_segment_align: 8
    .kernarg_segment_size: 360
    .language:       OpenCL C
    .language_version:
      - 2
      - 0
    .max_flat_workgroup_size: 1024
    .name:           _ZN2at6native12_GLOBAL__N_131cdist_backward_kernel_cuda_implIfNS1_5distsIfE3oneEEEvPT_PKS6_S9_S9_S9_S6_lllllll
    .private_segment_fixed_size: 0
    .sgpr_count:     48
    .sgpr_spill_count: 0
    .symbol:         _ZN2at6native12_GLOBAL__N_131cdist_backward_kernel_cuda_implIfNS1_5distsIfE3oneEEEvPT_PKS6_S9_S9_S9_S6_lllllll.kd
    .uniform_work_group_size: 1
    .uses_dynamic_stack: false
    .vgpr_count:     20
    .vgpr_spill_count: 0
    .wavefront_size: 64
  - .args:
      - .address_space:  global
        .offset:         0
        .size:           8
        .value_kind:     global_buffer
      - .address_space:  global
        .offset:         8
        .size:           8
        .value_kind:     global_buffer
      - .address_space:  global
        .offset:         16
        .size:           8
        .value_kind:     global_buffer
      - .address_space:  global
        .offset:         24
        .size:           8
        .value_kind:     global_buffer
      - .address_space:  global
        .offset:         32
        .size:           8
        .value_kind:     global_buffer
      - .offset:         40
        .size:           4
        .value_kind:     by_value
      - .offset:         48
        .size:           8
        .value_kind:     by_value
      - .offset:         56
        .size:           8
        .value_kind:     by_value
      - .offset:         64
        .size:           8
        .value_kind:     by_value
      - .offset:         72
        .size:           8
        .value_kind:     by_value
      - .offset:         80
        .size:           8
        .value_kind:     by_value
      - .offset:         88
        .size:           8
        .value_kind:     by_value
      - .offset:         96
        .size:           8
        .value_kind:     by_value
      - .offset:         104
        .size:           4
        .value_kind:     hidden_block_count_x
      - .offset:         108
        .size:           4
        .value_kind:     hidden_block_count_y
      - .offset:         112
        .size:           4
        .value_kind:     hidden_block_count_z
      - .offset:         116
        .size:           2
        .value_kind:     hidden_group_size_x
      - .offset:         118
        .size:           2
        .value_kind:     hidden_group_size_y
      - .offset:         120
        .size:           2
        .value_kind:     hidden_group_size_z
      - .offset:         122
        .size:           2
        .value_kind:     hidden_remainder_x
      - .offset:         124
        .size:           2
        .value_kind:     hidden_remainder_y
      - .offset:         126
        .size:           2
        .value_kind:     hidden_remainder_z
      - .offset:         144
        .size:           8
        .value_kind:     hidden_global_offset_x
      - .offset:         152
        .size:           8
        .value_kind:     hidden_global_offset_y
      - .offset:         160
        .size:           8
        .value_kind:     hidden_global_offset_z
      - .offset:         168
        .size:           2
        .value_kind:     hidden_grid_dims
    .group_segment_fixed_size: 0
    .kernarg_segment_align: 8
    .kernarg_segment_size: 360
    .language:       OpenCL C
    .language_version:
      - 2
      - 0
    .max_flat_workgroup_size: 1024
    .name:           _ZN2at6native12_GLOBAL__N_131cdist_backward_kernel_cuda_implIfNS1_5distsIfE6lt_twoEEEvPT_PKS6_S9_S9_S9_S6_lllllll
    .private_segment_fixed_size: 0
    .sgpr_count:     48
    .sgpr_spill_count: 0
    .symbol:         _ZN2at6native12_GLOBAL__N_131cdist_backward_kernel_cuda_implIfNS1_5distsIfE6lt_twoEEEvPT_PKS6_S9_S9_S9_S6_lllllll.kd
    .uniform_work_group_size: 1
    .uses_dynamic_stack: false
    .vgpr_count:     32
    .vgpr_spill_count: 0
    .wavefront_size: 64
  - .args:
      - .address_space:  global
        .offset:         0
        .size:           8
        .value_kind:     global_buffer
      - .address_space:  global
        .offset:         8
        .size:           8
        .value_kind:     global_buffer
      - .address_space:  global
        .offset:         16
        .size:           8
        .value_kind:     global_buffer
      - .address_space:  global
        .offset:         24
        .size:           8
        .value_kind:     global_buffer
      - .address_space:  global
        .offset:         32
        .size:           8
        .value_kind:     global_buffer
      - .offset:         40
        .size:           4
        .value_kind:     by_value
      - .offset:         48
        .size:           8
        .value_kind:     by_value
      - .offset:         56
        .size:           8
        .value_kind:     by_value
      - .offset:         64
        .size:           8
        .value_kind:     by_value
      - .offset:         72
        .size:           8
        .value_kind:     by_value
      - .offset:         80
        .size:           8
        .value_kind:     by_value
      - .offset:         88
        .size:           8
        .value_kind:     by_value
      - .offset:         96
        .size:           8
        .value_kind:     by_value
      - .offset:         104
        .size:           4
        .value_kind:     hidden_block_count_x
      - .offset:         108
        .size:           4
        .value_kind:     hidden_block_count_y
      - .offset:         112
        .size:           4
        .value_kind:     hidden_block_count_z
      - .offset:         116
        .size:           2
        .value_kind:     hidden_group_size_x
      - .offset:         118
        .size:           2
        .value_kind:     hidden_group_size_y
      - .offset:         120
        .size:           2
        .value_kind:     hidden_group_size_z
      - .offset:         122
        .size:           2
        .value_kind:     hidden_remainder_x
      - .offset:         124
        .size:           2
        .value_kind:     hidden_remainder_y
      - .offset:         126
        .size:           2
        .value_kind:     hidden_remainder_z
      - .offset:         144
        .size:           8
        .value_kind:     hidden_global_offset_x
      - .offset:         152
        .size:           8
        .value_kind:     hidden_global_offset_y
      - .offset:         160
        .size:           8
        .value_kind:     hidden_global_offset_z
      - .offset:         168
        .size:           2
        .value_kind:     hidden_grid_dims
    .group_segment_fixed_size: 0
    .kernarg_segment_align: 8
    .kernarg_segment_size: 360
    .language:       OpenCL C
    .language_version:
      - 2
      - 0
    .max_flat_workgroup_size: 1024
    .name:           _ZN2at6native12_GLOBAL__N_131cdist_backward_kernel_cuda_implIfNS1_5distsIfE3twoEEEvPT_PKS6_S9_S9_S9_S6_lllllll
    .private_segment_fixed_size: 0
    .sgpr_count:     48
    .sgpr_spill_count: 0
    .symbol:         _ZN2at6native12_GLOBAL__N_131cdist_backward_kernel_cuda_implIfNS1_5distsIfE3twoEEEvPT_PKS6_S9_S9_S9_S6_lllllll.kd
    .uniform_work_group_size: 1
    .uses_dynamic_stack: false
    .vgpr_count:     22
    .vgpr_spill_count: 0
    .wavefront_size: 64
  - .args:
      - .address_space:  global
        .offset:         0
        .size:           8
        .value_kind:     global_buffer
      - .address_space:  global
        .offset:         8
        .size:           8
        .value_kind:     global_buffer
      - .address_space:  global
        .offset:         16
        .size:           8
        .value_kind:     global_buffer
      - .address_space:  global
        .offset:         24
        .size:           8
        .value_kind:     global_buffer
      - .address_space:  global
        .offset:         32
        .size:           8
        .value_kind:     global_buffer
      - .offset:         40
        .size:           4
        .value_kind:     by_value
      - .offset:         48
        .size:           8
        .value_kind:     by_value
      - .offset:         56
        .size:           8
        .value_kind:     by_value
      - .offset:         64
        .size:           8
        .value_kind:     by_value
      - .offset:         72
        .size:           8
        .value_kind:     by_value
      - .offset:         80
        .size:           8
        .value_kind:     by_value
      - .offset:         88
        .size:           8
        .value_kind:     by_value
      - .offset:         96
        .size:           8
        .value_kind:     by_value
      - .offset:         104
        .size:           4
        .value_kind:     hidden_block_count_x
      - .offset:         108
        .size:           4
        .value_kind:     hidden_block_count_y
      - .offset:         112
        .size:           4
        .value_kind:     hidden_block_count_z
      - .offset:         116
        .size:           2
        .value_kind:     hidden_group_size_x
      - .offset:         118
        .size:           2
        .value_kind:     hidden_group_size_y
      - .offset:         120
        .size:           2
        .value_kind:     hidden_group_size_z
      - .offset:         122
        .size:           2
        .value_kind:     hidden_remainder_x
      - .offset:         124
        .size:           2
        .value_kind:     hidden_remainder_y
      - .offset:         126
        .size:           2
        .value_kind:     hidden_remainder_z
      - .offset:         144
        .size:           8
        .value_kind:     hidden_global_offset_x
      - .offset:         152
        .size:           8
        .value_kind:     hidden_global_offset_y
      - .offset:         160
        .size:           8
        .value_kind:     hidden_global_offset_z
      - .offset:         168
        .size:           2
        .value_kind:     hidden_grid_dims
    .group_segment_fixed_size: 0
    .kernarg_segment_align: 8
    .kernarg_segment_size: 360
    .language:       OpenCL C
    .language_version:
      - 2
      - 0
    .max_flat_workgroup_size: 1024
    .name:           _ZN2at6native12_GLOBAL__N_131cdist_backward_kernel_cuda_implIfNS1_5distsIfE3infEEEvPT_PKS6_S9_S9_S9_S6_lllllll
    .private_segment_fixed_size: 0
    .sgpr_count:     48
    .sgpr_spill_count: 0
    .symbol:         _ZN2at6native12_GLOBAL__N_131cdist_backward_kernel_cuda_implIfNS1_5distsIfE3infEEEvPT_PKS6_S9_S9_S9_S6_lllllll.kd
    .uniform_work_group_size: 1
    .uses_dynamic_stack: false
    .vgpr_count:     22
    .vgpr_spill_count: 0
    .wavefront_size: 64
amdhsa.target:   amdgcn-amd-amdhsa--gfx906
amdhsa.version:
  - 1
  - 2
...

	.end_amdgpu_metadata
